;; amdgpu-corpus repo=zjin-lcf/HeCBench kind=compiled arch=gfx906 opt=O3
	.amdgcn_target "amdgcn-amd-amdhsa--gfx906"
	.amdhsa_code_object_version 6
	.text
	.protected	_Z9make_flagPcPiS_5BoxCU10outer_walliiii ; -- Begin function _Z9make_flagPcPiS_5BoxCU10outer_walliiii
	.globl	_Z9make_flagPcPiS_5BoxCU10outer_walliiii
	.p2align	8
	.type	_Z9make_flagPcPiS_5BoxCU10outer_walliiii,@function
_Z9make_flagPcPiS_5BoxCU10outer_walliiii: ; @_Z9make_flagPcPiS_5BoxCU10outer_walliiii
; %bb.0:
	s_load_dwordx2 s[0:1], s[4:5], 0x28
                                        ; implicit-def: $vgpr25 : SGPR spill to VGPR lane
	v_writelane_b32 v25, s6, 0
	v_writelane_b32 v25, s8, 1
	s_waitcnt lgkmcnt(0)
	v_writelane_b32 v25, s0, 2
	s_cmp_ge_i32 s8, s1
	v_writelane_b32 v25, s1, 3
	s_cbranch_scc1 .LBB0_103
; %bb.1:
	s_load_dword s0, s[4:5], 0x64
	s_load_dwordx4 s[12:15], s[4:5], 0x30
	s_add_u32 s2, s4, 0x58
	s_addc_u32 s3, s5, 0
	s_mov_b32 s10, s7
	s_waitcnt lgkmcnt(0)
	s_lshr_b32 s11, s0, 16
	s_cmp_gt_i32 s13, 6
	v_writelane_b32 v25, s2, 4
	s_cselect_b64 s[30:31], -1, 0
	s_getpc_b64 s[6:7]
	s_add_u32 s6, s6, _ZL3C_p@gotpcrel32@lo+4
	s_addc_u32 s7, s7, _ZL3C_p@gotpcrel32@hi+12
	s_load_dwordx2 s[28:29], s[4:5], 0x5c
	s_load_dwordx2 s[48:49], s[4:5], 0x40
	v_writelane_b32 v25, s3, 5
	s_load_dwordx2 s[8:9], s[6:7], 0x0
	s_load_dwordx4 s[0:3], s[4:5], 0x48
	s_waitcnt lgkmcnt(0)
	s_ashr_i32 s3, s13, 31
	s_load_dwordx4 s[16:19], s[4:5], 0x18
	s_load_dwordx2 s[26:27], s[4:5], 0x28
	s_add_u32 s34, s8, s13
	s_addc_u32 s35, s9, s3
	s_cmp_lg_u32 s13, 7
	s_cselect_b64 s[6:7], -1, 0
	v_writelane_b32 v25, s6, 6
	s_cmp_lg_u32 s13, 8
	v_writelane_b32 v25, s7, 7
	s_cselect_b64 s[6:7], -1, 0
	s_cmp_eq_u32 s13, 4
	s_cselect_b64 s[20:21], -1, 0
	s_cmp_gt_i32 s12, 6
	s_cselect_b64 s[40:41], -1, 0
	s_ashr_i32 s3, s12, 31
	s_add_u32 s42, s8, s12
	s_addc_u32 s43, s9, s3
	s_cmp_lg_u32 s12, 7
	v_writelane_b32 v25, s20, 8
	s_cselect_b64 s[44:45], -1, 0
	s_cmp_lg_u32 s12, 8
	v_writelane_b32 v25, s21, 9
	s_cselect_b64 s[20:21], -1, 0
	s_cmp_eq_u32 s12, 4
	s_cselect_b64 s[46:47], -1, 0
	s_add_i32 s1, s1, -1
	s_cmp_gt_i32 s15, 6
	v_writelane_b32 v25, s1, 10
	s_cselect_b64 s[50:51], -1, 0
	s_ashr_i32 s1, s15, 31
	s_add_u32 s52, s8, s15
	s_addc_u32 s53, s9, s1
	s_cmp_lg_u32 s15, 7
	s_cselect_b64 s[22:23], -1, 0
	v_writelane_b32 v25, s22, 11
	s_cmp_lg_u32 s15, 8
	v_writelane_b32 v25, s23, 12
	s_cselect_b64 s[22:23], -1, 0
	s_cmp_eq_u32 s15, 4
	s_cselect_b64 s[56:57], -1, 0
	s_cmp_gt_i32 s14, 6
	s_cselect_b64 s[58:59], -1, 0
	s_ashr_i32 s1, s14, 31
	s_add_u32 s60, s8, s14
	s_addc_u32 s61, s9, s1
	s_cmp_lg_u32 s14, 7
	s_cselect_b64 s[62:63], -1, 0
	s_cmp_lg_u32 s14, 8
	s_cselect_b64 s[24:25], -1, 0
	s_cmp_eq_u32 s14, 4
	s_cselect_b64 s[64:65], -1, 0
	s_add_i32 s1, s2, -1
	s_cmp_gt_i32 s49, 6
	v_writelane_b32 v25, s1, 13
	s_cselect_b64 s[66:67], -1, 0
	s_ashr_i32 s1, s49, 31
	s_add_u32 s68, s8, s49
	s_addc_u32 s69, s9, s1
	s_cmp_lg_u32 s49, 7
	s_cselect_b64 s[70:71], -1, 0
	s_cmp_lg_u32 s49, 8
	s_cselect_b64 s[2:3], -1, 0
	s_cmp_eq_u32 s49, 4
	s_cselect_b64 s[72:73], -1, 0
	s_cmp_gt_i32 s48, 6
	s_cselect_b64 s[74:75], -1, 0
	s_ashr_i32 s1, s48, 31
	s_add_u32 s76, s8, s48
	s_addc_u32 s77, s9, s1
	s_cmp_lg_u32 s48, 7
	s_cselect_b64 s[78:79], -1, 0
	s_cmp_lg_u32 s48, 8
	s_cselect_b64 s[8:9], -1, 0
	s_cmp_eq_u32 s48, 4
	s_cselect_b64 s[80:81], -1, 0
	s_waitcnt lgkmcnt(0)
	s_abs_i32 s33, s17
	v_cvt_f32_u32_e32 v2, s33
	s_mul_i32 s10, s10, s11
	v_add_u32_e32 v5, s10, v1
	s_abs_i32 s37, s19
	v_rcp_iflag_f32_e32 v2, v2
	s_abs_i32 s10, s27
	v_cvt_f32_u32_e32 v1, s37
	s_not_b32 s36, s16
	v_mul_f32_e32 v2, 0x4f7ffffe, v2
	v_cvt_u32_f32_e32 v2, v2
	v_rcp_iflag_f32_e32 v1, v1
	s_add_i32 s36, s36, s0
	s_sub_i32 s0, 0, s33
	v_readfirstlane_b32 s1, v2
	v_cvt_f32_u32_e32 v2, s10
	v_mul_f32_e32 v1, 0x4f7ffffe, v1
	v_cvt_u32_f32_e32 v1, v1
	s_mul_i32 s0, s0, s1
	v_rcp_iflag_f32_e32 v2, v2
	s_mul_hi_u32 s0, s1, s0
	s_add_i32 s38, s1, s0
	s_sub_i32 s0, 0, s37
	v_mul_f32_e32 v2, 0x4f7ffffe, v2
	v_cvt_u32_f32_e32 v2, v2
	v_mul_lo_u32 v3, s0, v1
	s_sub_i32 s0, 0, s10
	v_writelane_b32 v25, s10, 14
	v_readfirstlane_b32 s1, v2
	s_mul_i32 s0, s0, s1
	s_mul_hi_u32 s0, s1, s0
	s_add_i32 s0, s1, s0
	v_writelane_b32 v25, s0, 15
	v_writelane_b32 v25, s28, 16
	;; [unrolled: 1-line block ×3, first 2 shown]
	s_mul_i32 s0, s28, s11
	v_writelane_b32 v25, s0, 18
	s_xor_b64 s[0:1], s[6:7], -1
	v_writelane_b32 v25, s0, 19
	v_writelane_b32 v25, s1, 20
	s_xor_b64 s[0:1], s[22:23], -1
	v_mul_hi_u32 v2, v1, v3
	s_xor_b64 s[84:85], s[20:21], -1
	v_writelane_b32 v25, s0, 21
	s_load_dwordx2 s[92:93], s[4:5], 0x10
	s_load_dwordx4 s[20:23], s[4:5], 0x0
	v_writelane_b32 v25, s1, 22
	s_xor_b64 s[0:1], s[2:3], -1
	v_writelane_b32 v25, s0, 23
	v_writelane_b32 v25, s1, 24
	v_cmp_gt_i32_e64 s[0:1], s19, v5
	v_add_u32_e32 v6, v1, v2
	v_mov_b32_e32 v7, 0
	v_mov_b32_e32 v8, 1
	v_mov_b32_e32 v9, 9
	v_mov_b32_e32 v10, 4
	v_mov_b32_e32 v11, 3
	v_mov_b32_e32 v12, 2
	s_xor_b64 s[88:89], s[24:25], -1
	v_mov_b32_e32 v13, 5
	s_xor_b64 s[94:95], s[8:9], -1
	s_sub_i32 s16, 0, s16
	s_movk_i32 s39, 0xfd
	v_writelane_b32 v25, s0, 25
	v_writelane_b32 v25, s1, 26
	s_branch .LBB0_3
.LBB0_2:                                ;   in Loop: Header=BB0_3 Depth=1
	v_readlane_b32 s0, v25, 27
	v_readlane_b32 s1, v25, 28
	s_or_b64 exec, exec, s[0:1]
	v_readlane_b32 s2, v25, 16
	v_readlane_b32 s0, v25, 1
	;; [unrolled: 1-line block ×3, first 2 shown]
	s_add_i32 s0, s3, s0
	v_writelane_b32 v25, s0, 1
	v_readlane_b32 s2, v25, 2
	v_readlane_b32 s3, v25, 3
	s_cmp_ge_i32 s0, s3
	s_cbranch_scc1 .LBB0_103
.LBB0_3:                                ; =>This Loop Header: Depth=1
                                        ;     Child Loop BB0_6 Depth 2
                                        ;       Child Loop BB0_10 Depth 3
	s_mov_b64 s[2:3], exec
	v_readlane_b32 s0, v25, 25
	v_readlane_b32 s1, v25, 26
	v_writelane_b32 v25, s2, 27
	s_and_b64 s[0:1], s[2:3], s[0:1]
	v_writelane_b32 v25, s3, 28
	s_mov_b64 exec, s[0:1]
	s_cbranch_execz .LBB0_2
; %bb.4:                                ;   in Loop: Header=BB0_3 Depth=1
	v_readlane_b32 s2, v25, 4
	v_readlane_b32 s3, v25, 5
	s_load_dword s0, s[2:3], 0xc
	s_load_dword s54, s[2:3], 0x0
	v_readlane_b32 s3, v25, 0
	v_readlane_b32 s4, v25, 2
	;; [unrolled: 1-line block ×3, first 2 shown]
	s_waitcnt lgkmcnt(0)
	s_and_b32 s0, s0, 0xffff
	s_mul_i32 s3, s3, s0
	v_readlane_b32 s5, v25, 3
	v_add_u32_e32 v14, s3, v0
	s_add_i32 s1, s2, s5
	s_add_i32 s2, s2, s4
	v_cmp_gt_i32_e64 s[4:5], s17, v14
	v_writelane_b32 v25, s4, 29
	v_writelane_b32 v25, s5, 30
	s_cmp_lg_u32 s2, 0
	v_readlane_b32 s3, v25, 13
	s_cselect_b64 s[6:7], -1, 0
	s_cmp_eq_u32 s2, s3
	s_cselect_b64 s[28:29], -1, 0
	s_mul_i32 s54, s54, s0
	s_ashr_i32 s0, s1, 31
	s_abs_i32 s1, s1
	v_readlane_b32 s2, v25, 15
	s_mul_hi_u32 s2, s1, s2
	v_readlane_b32 s3, v25, 14
	s_mul_i32 s2, s2, s3
	s_sub_i32 s1, s1, s2
	s_sub_i32 s2, s1, s3
	s_cmp_ge_u32 s1, s3
	s_cselect_b32 s1, s2, s1
	s_sub_i32 s2, s1, s3
	s_cmp_ge_u32 s1, s3
	s_cselect_b32 s1, s2, s1
	s_xor_b32 s1, s1, s0
	s_sub_i32 s55, s1, s0
	s_mul_i32 s55, s55, s19
	s_mov_b64 s[0:1], 0
	v_mov_b32_e32 v15, v5
	s_branch .LBB0_6
.LBB0_5:                                ;   in Loop: Header=BB0_6 Depth=2
	s_or_b64 exec, exec, s[24:25]
	v_readlane_b32 s2, v25, 18
	v_add_u32_e32 v15, s2, v15
	v_cmp_le_i32_e32 vcc, s19, v15
	s_or_b64 s[0:1], vcc, s[0:1]
	s_andn2_b64 exec, exec, s[0:1]
	s_cbranch_execz .LBB0_2
.LBB0_6:                                ;   Parent Loop BB0_3 Depth=1
                                        ; =>  This Loop Header: Depth=2
                                        ;       Child Loop BB0_10 Depth 3
	s_mov_b64 s[24:25], exec
	v_readlane_b32 s2, v25, 29
	v_readlane_b32 s3, v25, 30
	s_and_b64 s[2:3], s[24:25], s[2:3]
	s_mov_b64 exec, s[2:3]
	s_cbranch_execz .LBB0_5
; %bb.7:                                ;   in Loop: Header=BB0_6 Depth=2
	v_add_u32_e32 v1, s19, v15
	v_sub_u32_e32 v2, 0, v1
	v_max_i32_e32 v2, v1, v2
	v_mul_hi_u32 v3, v2, v6
	v_ashrrev_i32_e32 v1, 31, v1
	v_add_u32_e32 v4, s18, v15
	v_readlane_b32 s2, v25, 10
	v_mul_lo_u32 v3, v3, s37
	v_cmp_ne_u32_e64 s[4:5], 0, v4
	v_cmp_eq_u32_e64 s[10:11], s2, v4
	s_mov_b64 s[26:27], 0
	v_sub_u32_e32 v2, v2, v3
	v_subrev_u32_e32 v3, s37, v2
	v_cmp_le_u32_e32 vcc, s37, v2
	v_cndmask_b32_e32 v2, v2, v3, vcc
	v_subrev_u32_e32 v3, s37, v2
	v_cmp_le_u32_e32 vcc, s37, v2
	v_cndmask_b32_e32 v2, v2, v3, vcc
	v_xor_b32_e32 v2, v2, v1
	v_sub_u32_e32 v1, v2, v1
	v_add_u32_e32 v1, s55, v1
	v_mul_lo_u32 v16, v1, s17
	v_mov_b32_e32 v17, v14
	s_branch .LBB0_10
.LBB0_8:                                ;   in Loop: Header=BB0_10 Depth=3
	s_or_b64 exec, exec, s[8:9]
.LBB0_9:                                ;   in Loop: Header=BB0_10 Depth=3
	v_add_u32_e32 v17, s54, v17
	v_cmp_le_i32_e32 vcc, s17, v17
	s_or_b64 s[26:27], vcc, s[26:27]
	s_andn2_b64 exec, exec, s[26:27]
	s_cbranch_execz .LBB0_5
.LBB0_10:                               ;   Parent Loop BB0_3 Depth=1
                                        ;     Parent Loop BB0_6 Depth=2
                                        ; =>    This Inner Loop Header: Depth=3
	v_cmp_ne_u32_e32 vcc, s16, v17
	s_and_saveexec_b64 s[2:3], vcc
	s_xor_b64 s[8:9], exec, s[2:3]
	s_cbranch_execnz .LBB0_13
; %bb.11:                               ;   in Loop: Header=BB0_10 Depth=3
	s_andn2_saveexec_b64 s[8:9], s[8:9]
	s_cbranch_execnz .LBB0_28
.LBB0_12:                               ;   in Loop: Header=BB0_10 Depth=3
	s_or_b64 exec, exec, s[8:9]
	s_and_saveexec_b64 s[2:3], s[4:5]
	s_xor_b64 s[82:83], exec, s[2:3]
	s_cbranch_execnz .LBB0_42
	s_branch .LBB0_57
.LBB0_13:                               ;   in Loop: Header=BB0_10 Depth=3
	v_cmp_eq_u32_e32 vcc, s36, v17
	s_and_saveexec_b64 s[82:83], vcc
	s_cbranch_execz .LBB0_27
; %bb.14:                               ;   in Loop: Header=BB0_10 Depth=3
	s_add_i32 s2, s17, s36
	s_ashr_i32 s3, s2, 31
	s_abs_i32 s2, s2
	s_mul_hi_u32 s86, s2, s38
	s_mul_i32 s86, s86, s33
	s_sub_i32 s2, s2, s86
	s_sub_i32 s86, s2, s33
	s_cmp_ge_u32 s2, s33
	s_cselect_b32 s2, s86, s2
	s_sub_i32 s86, s2, s33
	s_cmp_ge_u32 s2, s33
	s_cselect_b32 s2, s86, s2
	s_xor_b32 s2, s2, s3
	s_sub_i32 s2, s2, s3
	v_add_u32_e32 v3, s2, v16
	s_andn2_b64 vcc, exec, s[30:31]
	v_ashrrev_i32_e32 v4, 31, v3
	s_cbranch_vccnz .LBB0_16
; %bb.15:                               ;   in Loop: Header=BB0_10 Depth=3
	v_mov_b32_e32 v2, s93
	v_add_co_u32_e32 v1, vcc, s92, v3
	v_addc_co_u32_e32 v2, vcc, v2, v4, vcc
	global_store_byte v[1:2], v8, off
.LBB0_16:                               ;   in Loop: Header=BB0_10 Depth=3
	v_mov_b32_e32 v2, s21
	v_add_co_u32_e32 v1, vcc, s20, v3
	v_addc_co_u32_e32 v2, vcc, v2, v4, vcc
	global_load_ubyte v18, v[1:2], off
	s_getpc_b64 s[2:3]
	s_add_u32 s2, s2, _ZL3C_p@gotpcrel32@lo+4
	s_addc_u32 s3, s3, _ZL3C_p@gotpcrel32@hi+12
	s_load_dwordx2 s[2:3], s[2:3], 0x0
	s_waitcnt lgkmcnt(0)
	v_mov_b32_e32 v20, s3
	s_waitcnt vmcnt(0)
	v_bfe_i32 v19, v18, 0, 8
	v_ashrrev_i32_e32 v21, 31, v19
	v_add_co_u32_e32 v19, vcc, s2, v19
	v_addc_co_u32_e32 v20, vcc, v20, v21, vcc
	global_load_sbyte v19, v[19:20], off
	s_nop 0
	global_load_sbyte v20, v7, s[34:35]
	s_waitcnt vmcnt(0)
	v_cmp_ge_i16_e32 vcc, v19, v20
	s_and_saveexec_b64 s[2:3], vcc
	s_xor_b64 s[86:87], exec, s[2:3]
	s_cbranch_execz .LBB0_24
; %bb.17:                               ;   in Loop: Header=BB0_10 Depth=3
	v_readlane_b32 s2, v25, 6
	v_readlane_b32 s3, v25, 7
	s_andn2_b64 vcc, exec, s[2:3]
	v_cmp_ne_u16_sdwa s[2:3], v18, v10 src0_sel:BYTE_0 src1_sel:DWORD
	s_cbranch_vccnz .LBB0_19
; %bb.18:                               ;   in Loop: Header=BB0_10 Depth=3
	v_add_u16_e32 v3, -9, v18
	v_readlane_b32 vcc_lo, v25, 19
	v_cmp_gt_u16_sdwa s[90:91], v3, s39 src0_sel:BYTE_0 src1_sel:DWORD
	v_readlane_b32 vcc_hi, v25, 20
	s_or_b64 s[90:91], vcc, s[90:91]
	s_and_b64 s[90:91], s[2:3], s[90:91]
	s_and_b64 s[90:91], s[90:91], exec
	s_cbranch_execz .LBB0_20
	s_branch .LBB0_21
.LBB0_19:                               ;   in Loop: Header=BB0_10 Depth=3
	s_mov_b64 s[90:91], 0
.LBB0_20:                               ;   in Loop: Header=BB0_10 Depth=3
	s_andn2_b64 s[90:91], s[90:91], exec
	s_and_b64 s[2:3], s[2:3], exec
	s_or_b64 s[90:91], s[90:91], s[2:3]
.LBB0_21:                               ;   in Loop: Header=BB0_10 Depth=3
	s_and_saveexec_b64 s[2:3], s[90:91]
	s_cbranch_execz .LBB0_23
; %bb.22:                               ;   in Loop: Header=BB0_10 Depth=3
	global_store_byte v[1:2], v9, off
.LBB0_23:                               ;   in Loop: Header=BB0_10 Depth=3
	s_or_b64 exec, exec, s[2:3]
                                        ; implicit-def: $vgpr1_vgpr2
                                        ; implicit-def: $vgpr3_vgpr4
.LBB0_24:                               ;   in Loop: Header=BB0_10 Depth=3
	s_andn2_saveexec_b64 s[2:3], s[86:87]
	s_cbranch_execz .LBB0_27
; %bb.25:                               ;   in Loop: Header=BB0_10 Depth=3
	v_readlane_b32 s2, v25, 8
	v_readlane_b32 s3, v25, 9
	v_mov_b32_e32 v18, s13
	s_andn2_b64 vcc, exec, s[2:3]
	global_store_byte v[1:2], v18, off
	s_cbranch_vccnz .LBB0_27
; %bb.26:                               ;   in Loop: Header=BB0_10 Depth=3
	v_lshlrev_b64 v[1:2], 2, v[3:4]
	v_mov_b32_e32 v3, s23
	v_add_co_u32_e32 v1, vcc, s22, v1
	v_addc_co_u32_e32 v2, vcc, v3, v2, vcc
	global_store_dword v[1:2], v10, off
.LBB0_27:                               ;   in Loop: Header=BB0_10 Depth=3
	s_or_b64 exec, exec, s[82:83]
	s_andn2_saveexec_b64 s[8:9], s[8:9]
	s_cbranch_execz .LBB0_12
.LBB0_28:                               ;   in Loop: Header=BB0_10 Depth=3
	s_add_i32 s2, s17, s16
	s_ashr_i32 s3, s2, 31
	s_abs_i32 s2, s2
	s_mul_hi_u32 s82, s2, s38
	s_mul_i32 s82, s82, s33
	s_sub_i32 s2, s2, s82
	s_sub_i32 s82, s2, s33
	s_cmp_ge_u32 s2, s33
	s_cselect_b32 s2, s82, s2
	s_sub_i32 s82, s2, s33
	s_cmp_ge_u32 s2, s33
	s_cselect_b32 s2, s82, s2
	s_xor_b32 s2, s2, s3
	s_sub_i32 s2, s2, s3
	v_add_u32_e32 v3, s2, v16
	s_andn2_b64 vcc, exec, s[40:41]
	v_ashrrev_i32_e32 v4, 31, v3
	s_cbranch_vccnz .LBB0_30
; %bb.29:                               ;   in Loop: Header=BB0_10 Depth=3
	v_mov_b32_e32 v2, s93
	v_add_co_u32_e32 v1, vcc, s92, v3
	v_addc_co_u32_e32 v2, vcc, v2, v4, vcc
	global_store_byte v[1:2], v7, off
.LBB0_30:                               ;   in Loop: Header=BB0_10 Depth=3
	v_mov_b32_e32 v2, s21
	v_add_co_u32_e32 v1, vcc, s20, v3
	v_addc_co_u32_e32 v2, vcc, v2, v4, vcc
	global_load_ubyte v18, v[1:2], off
	s_getpc_b64 s[2:3]
	s_add_u32 s2, s2, _ZL3C_p@gotpcrel32@lo+4
	s_addc_u32 s3, s3, _ZL3C_p@gotpcrel32@hi+12
	s_load_dwordx2 s[2:3], s[2:3], 0x0
	s_waitcnt lgkmcnt(0)
	v_mov_b32_e32 v20, s3
	s_waitcnt vmcnt(0)
	v_bfe_i32 v19, v18, 0, 8
	v_ashrrev_i32_e32 v21, 31, v19
	v_add_co_u32_e32 v19, vcc, s2, v19
	v_addc_co_u32_e32 v20, vcc, v20, v21, vcc
	global_load_sbyte v19, v[19:20], off
	s_nop 0
	global_load_sbyte v20, v7, s[42:43]
	s_waitcnt vmcnt(0)
	v_cmp_ge_i16_e32 vcc, v19, v20
	s_and_saveexec_b64 s[2:3], vcc
	s_xor_b64 s[82:83], exec, s[2:3]
	s_cbranch_execz .LBB0_38
; %bb.31:                               ;   in Loop: Header=BB0_10 Depth=3
	s_andn2_b64 vcc, exec, s[44:45]
	v_cmp_ne_u16_sdwa s[2:3], v18, v10 src0_sel:BYTE_0 src1_sel:DWORD
	s_cbranch_vccnz .LBB0_33
; %bb.32:                               ;   in Loop: Header=BB0_10 Depth=3
	v_add_u16_e32 v3, -9, v18
	v_cmp_gt_u16_sdwa s[86:87], v3, s39 src0_sel:BYTE_0 src1_sel:DWORD
	s_or_b64 s[86:87], s[84:85], s[86:87]
	s_and_b64 s[86:87], s[2:3], s[86:87]
	s_and_b64 s[86:87], s[86:87], exec
	s_cbranch_execz .LBB0_34
	s_branch .LBB0_35
.LBB0_33:                               ;   in Loop: Header=BB0_10 Depth=3
	s_mov_b64 s[86:87], 0
.LBB0_34:                               ;   in Loop: Header=BB0_10 Depth=3
	s_andn2_b64 s[86:87], s[86:87], exec
	s_and_b64 s[2:3], s[2:3], exec
	s_or_b64 s[86:87], s[86:87], s[2:3]
.LBB0_35:                               ;   in Loop: Header=BB0_10 Depth=3
	s_and_saveexec_b64 s[2:3], s[86:87]
	s_cbranch_execz .LBB0_37
; %bb.36:                               ;   in Loop: Header=BB0_10 Depth=3
	global_store_byte v[1:2], v9, off
.LBB0_37:                               ;   in Loop: Header=BB0_10 Depth=3
	s_or_b64 exec, exec, s[2:3]
                                        ; implicit-def: $vgpr1_vgpr2
                                        ; implicit-def: $vgpr3_vgpr4
.LBB0_38:                               ;   in Loop: Header=BB0_10 Depth=3
	s_andn2_saveexec_b64 s[82:83], s[82:83]
	s_cbranch_execz .LBB0_41
; %bb.39:                               ;   in Loop: Header=BB0_10 Depth=3
	v_mov_b32_e32 v18, s12
	s_andn2_b64 vcc, exec, s[46:47]
	global_store_byte v[1:2], v18, off
	s_cbranch_vccnz .LBB0_41
; %bb.40:                               ;   in Loop: Header=BB0_10 Depth=3
	v_lshlrev_b64 v[1:2], 2, v[3:4]
	v_mov_b32_e32 v3, s23
	v_add_co_u32_e32 v1, vcc, s22, v1
	v_addc_co_u32_e32 v2, vcc, v3, v2, vcc
	global_store_dword v[1:2], v10, off
.LBB0_41:                               ;   in Loop: Header=BB0_10 Depth=3
	s_or_b64 exec, exec, s[82:83]
	s_or_b64 exec, exec, s[8:9]
	s_and_saveexec_b64 s[2:3], s[4:5]
	s_xor_b64 s[82:83], exec, s[2:3]
	s_cbranch_execz .LBB0_57
.LBB0_42:                               ;   in Loop: Header=BB0_10 Depth=3
	s_and_saveexec_b64 s[8:9], s[10:11]
	s_cbranch_execz .LBB0_56
; %bb.43:                               ;   in Loop: Header=BB0_10 Depth=3
	v_add_u32_e32 v1, s17, v17
	v_sub_u32_e32 v2, 0, v1
	v_max_i32_e32 v2, v1, v2
	v_mul_hi_u32 v3, v2, s38
	v_ashrrev_i32_e32 v1, 31, v1
	v_mul_lo_u32 v3, v3, s33
	v_sub_u32_e32 v2, v2, v3
	v_subrev_u32_e32 v3, s33, v2
	v_cmp_le_u32_e32 vcc, s33, v2
	v_cndmask_b32_e32 v2, v2, v3, vcc
	v_subrev_u32_e32 v3, s33, v2
	v_cmp_le_u32_e32 vcc, s33, v2
	v_cndmask_b32_e32 v2, v2, v3, vcc
	v_xor_b32_e32 v2, v2, v1
	v_sub_u32_e32 v1, v2, v1
	v_add_u32_e32 v3, v16, v1
	s_andn2_b64 vcc, exec, s[50:51]
	v_ashrrev_i32_e32 v4, 31, v3
	s_cbranch_vccnz .LBB0_45
; %bb.44:                               ;   in Loop: Header=BB0_10 Depth=3
	v_mov_b32_e32 v2, s93
	v_add_co_u32_e32 v1, vcc, s92, v3
	v_addc_co_u32_e32 v2, vcc, v2, v4, vcc
	global_store_byte v[1:2], v11, off
.LBB0_45:                               ;   in Loop: Header=BB0_10 Depth=3
	v_mov_b32_e32 v2, s21
	v_add_co_u32_e32 v1, vcc, s20, v3
	v_addc_co_u32_e32 v2, vcc, v2, v4, vcc
	global_load_ubyte v18, v[1:2], off
	s_getpc_b64 s[2:3]
	s_add_u32 s2, s2, _ZL3C_p@gotpcrel32@lo+4
	s_addc_u32 s3, s3, _ZL3C_p@gotpcrel32@hi+12
	s_load_dwordx2 s[2:3], s[2:3], 0x0
	s_waitcnt lgkmcnt(0)
	v_mov_b32_e32 v20, s3
	s_waitcnt vmcnt(0)
	v_bfe_i32 v19, v18, 0, 8
	v_ashrrev_i32_e32 v21, 31, v19
	v_add_co_u32_e32 v19, vcc, s2, v19
	v_addc_co_u32_e32 v20, vcc, v20, v21, vcc
	global_load_sbyte v19, v[19:20], off
	s_nop 0
	global_load_sbyte v20, v7, s[52:53]
	s_waitcnt vmcnt(0)
	v_cmp_ge_i16_e32 vcc, v19, v20
	s_and_saveexec_b64 s[2:3], vcc
	s_xor_b64 s[86:87], exec, s[2:3]
	s_cbranch_execz .LBB0_53
; %bb.46:                               ;   in Loop: Header=BB0_10 Depth=3
	v_readlane_b32 s2, v25, 11
	v_readlane_b32 s3, v25, 12
	s_andn2_b64 vcc, exec, s[2:3]
	v_cmp_ne_u16_sdwa s[2:3], v18, v10 src0_sel:BYTE_0 src1_sel:DWORD
	s_cbranch_vccnz .LBB0_48
; %bb.47:                               ;   in Loop: Header=BB0_10 Depth=3
	v_add_u16_e32 v3, -9, v18
	v_readlane_b32 vcc_lo, v25, 21
	v_cmp_gt_u16_sdwa s[90:91], v3, s39 src0_sel:BYTE_0 src1_sel:DWORD
	v_readlane_b32 vcc_hi, v25, 22
	s_or_b64 s[90:91], vcc, s[90:91]
	s_and_b64 s[90:91], s[2:3], s[90:91]
	s_and_b64 s[90:91], s[90:91], exec
	s_cbranch_execz .LBB0_49
	s_branch .LBB0_50
.LBB0_48:                               ;   in Loop: Header=BB0_10 Depth=3
	s_mov_b64 s[90:91], 0
.LBB0_49:                               ;   in Loop: Header=BB0_10 Depth=3
	s_andn2_b64 s[90:91], s[90:91], exec
	s_and_b64 s[2:3], s[2:3], exec
	s_or_b64 s[90:91], s[90:91], s[2:3]
.LBB0_50:                               ;   in Loop: Header=BB0_10 Depth=3
	s_and_saveexec_b64 s[2:3], s[90:91]
	s_cbranch_execz .LBB0_52
; %bb.51:                               ;   in Loop: Header=BB0_10 Depth=3
	global_store_byte v[1:2], v9, off
.LBB0_52:                               ;   in Loop: Header=BB0_10 Depth=3
	s_or_b64 exec, exec, s[2:3]
                                        ; implicit-def: $vgpr1_vgpr2
                                        ; implicit-def: $vgpr3_vgpr4
.LBB0_53:                               ;   in Loop: Header=BB0_10 Depth=3
	s_andn2_saveexec_b64 s[2:3], s[86:87]
	s_cbranch_execz .LBB0_56
; %bb.54:                               ;   in Loop: Header=BB0_10 Depth=3
	v_mov_b32_e32 v18, s15
	s_andn2_b64 vcc, exec, s[56:57]
	global_store_byte v[1:2], v18, off
	s_cbranch_vccnz .LBB0_56
; %bb.55:                               ;   in Loop: Header=BB0_10 Depth=3
	v_lshlrev_b64 v[1:2], 2, v[3:4]
	v_mov_b32_e32 v3, s23
	v_add_co_u32_e32 v1, vcc, s22, v1
	v_addc_co_u32_e32 v2, vcc, v3, v2, vcc
	global_store_dword v[1:2], v10, off
.LBB0_56:                               ;   in Loop: Header=BB0_10 Depth=3
	s_or_b64 exec, exec, s[8:9]
.LBB0_57:                               ;   in Loop: Header=BB0_10 Depth=3
	s_or_saveexec_b64 s[82:83], s[82:83]
	v_add_u32_e32 v19, s17, v17
	v_ashrrev_i32_e32 v18, 31, v19
	v_sub_u32_e32 v20, 0, v19
	s_xor_b64 exec, exec, s[82:83]
	s_cbranch_execz .LBB0_72
; %bb.58:                               ;   in Loop: Header=BB0_10 Depth=3
	v_max_i32_e32 v1, v19, v20
	v_mul_hi_u32 v2, v1, s38
	v_mul_lo_u32 v2, v2, s33
	v_sub_u32_e32 v1, v1, v2
	v_subrev_u32_e32 v2, s33, v1
	v_cmp_le_u32_e32 vcc, s33, v1
	v_cndmask_b32_e32 v1, v1, v2, vcc
	v_subrev_u32_e32 v2, s33, v1
	v_cmp_le_u32_e32 vcc, s33, v1
	v_cndmask_b32_e32 v1, v1, v2, vcc
	v_xor_b32_e32 v1, v1, v18
	v_sub_u32_e32 v1, v1, v18
	v_add_u32_e32 v3, v16, v1
	s_andn2_b64 vcc, exec, s[58:59]
	v_ashrrev_i32_e32 v4, 31, v3
	s_cbranch_vccnz .LBB0_60
; %bb.59:                               ;   in Loop: Header=BB0_10 Depth=3
	v_mov_b32_e32 v2, s93
	v_add_co_u32_e32 v1, vcc, s92, v3
	v_addc_co_u32_e32 v2, vcc, v2, v4, vcc
	global_store_byte v[1:2], v12, off
.LBB0_60:                               ;   in Loop: Header=BB0_10 Depth=3
	v_mov_b32_e32 v2, s21
	v_add_co_u32_e32 v1, vcc, s20, v3
	v_addc_co_u32_e32 v2, vcc, v2, v4, vcc
	global_load_ubyte v21, v[1:2], off
	s_getpc_b64 s[2:3]
	s_add_u32 s2, s2, _ZL3C_p@gotpcrel32@lo+4
	s_addc_u32 s3, s3, _ZL3C_p@gotpcrel32@hi+12
	s_load_dwordx2 s[2:3], s[2:3], 0x0
	s_waitcnt lgkmcnt(0)
	v_mov_b32_e32 v23, s3
	s_waitcnt vmcnt(0)
	v_bfe_i32 v22, v21, 0, 8
	v_ashrrev_i32_e32 v24, 31, v22
	v_add_co_u32_e32 v22, vcc, s2, v22
	v_addc_co_u32_e32 v23, vcc, v23, v24, vcc
	global_load_sbyte v22, v[22:23], off
	s_nop 0
	global_load_sbyte v23, v7, s[60:61]
	s_waitcnt vmcnt(0)
	v_cmp_ge_i16_e32 vcc, v22, v23
	s_and_saveexec_b64 s[2:3], vcc
	s_xor_b64 s[8:9], exec, s[2:3]
	s_cbranch_execz .LBB0_68
; %bb.61:                               ;   in Loop: Header=BB0_10 Depth=3
	s_andn2_b64 vcc, exec, s[62:63]
	v_cmp_ne_u16_sdwa s[86:87], v21, v10 src0_sel:BYTE_0 src1_sel:DWORD
	s_cbranch_vccnz .LBB0_63
; %bb.62:                               ;   in Loop: Header=BB0_10 Depth=3
	v_add_u16_e32 v3, -9, v21
	v_cmp_gt_u16_sdwa s[2:3], v3, s39 src0_sel:BYTE_0 src1_sel:DWORD
	s_or_b64 s[2:3], s[88:89], s[2:3]
	s_and_b64 s[2:3], s[86:87], s[2:3]
	s_and_b64 s[2:3], s[2:3], exec
	s_cbranch_execz .LBB0_64
	s_branch .LBB0_65
.LBB0_63:                               ;   in Loop: Header=BB0_10 Depth=3
	s_mov_b64 s[2:3], 0
.LBB0_64:                               ;   in Loop: Header=BB0_10 Depth=3
	s_andn2_b64 s[2:3], s[2:3], exec
	s_and_b64 s[86:87], s[86:87], exec
	s_or_b64 s[2:3], s[2:3], s[86:87]
.LBB0_65:                               ;   in Loop: Header=BB0_10 Depth=3
	s_and_saveexec_b64 s[86:87], s[2:3]
	s_cbranch_execz .LBB0_67
; %bb.66:                               ;   in Loop: Header=BB0_10 Depth=3
	global_store_byte v[1:2], v9, off
.LBB0_67:                               ;   in Loop: Header=BB0_10 Depth=3
	s_or_b64 exec, exec, s[86:87]
                                        ; implicit-def: $vgpr1_vgpr2
                                        ; implicit-def: $vgpr3_vgpr4
.LBB0_68:                               ;   in Loop: Header=BB0_10 Depth=3
	s_andn2_saveexec_b64 s[8:9], s[8:9]
	s_cbranch_execz .LBB0_71
; %bb.69:                               ;   in Loop: Header=BB0_10 Depth=3
	v_mov_b32_e32 v21, s14
	s_andn2_b64 vcc, exec, s[64:65]
	global_store_byte v[1:2], v21, off
	s_cbranch_vccnz .LBB0_71
; %bb.70:                               ;   in Loop: Header=BB0_10 Depth=3
	v_lshlrev_b64 v[1:2], 2, v[3:4]
	v_mov_b32_e32 v3, s23
	v_add_co_u32_e32 v1, vcc, s22, v1
	v_addc_co_u32_e32 v2, vcc, v3, v2, vcc
	global_store_dword v[1:2], v10, off
.LBB0_71:                               ;   in Loop: Header=BB0_10 Depth=3
	s_or_b64 exec, exec, s[8:9]
.LBB0_72:                               ;   in Loop: Header=BB0_10 Depth=3
	s_or_b64 exec, exec, s[82:83]
	s_and_b64 vcc, exec, s[6:7]
	s_cbranch_vccz .LBB0_79
; %bb.73:                               ;   in Loop: Header=BB0_10 Depth=3
	s_andn2_b64 vcc, exec, s[28:29]
	s_cbranch_vccnz .LBB0_89
; %bb.74:                               ;   in Loop: Header=BB0_10 Depth=3
	v_max_i32_e32 v1, v19, v20
	v_mul_hi_u32 v2, v1, s38
	v_mul_lo_u32 v2, v2, s33
	v_sub_u32_e32 v1, v1, v2
	v_subrev_u32_e32 v2, s33, v1
	v_cmp_le_u32_e32 vcc, s33, v1
	v_cndmask_b32_e32 v1, v1, v2, vcc
	v_subrev_u32_e32 v2, s33, v1
	v_cmp_le_u32_e32 vcc, s33, v1
	v_cndmask_b32_e32 v1, v1, v2, vcc
	v_xor_b32_e32 v1, v1, v18
	v_sub_u32_e32 v1, v1, v18
	v_add_u32_e32 v3, v16, v1
	s_andn2_b64 vcc, exec, s[66:67]
	v_ashrrev_i32_e32 v4, 31, v3
	s_cbranch_vccnz .LBB0_76
; %bb.75:                               ;   in Loop: Header=BB0_10 Depth=3
	v_mov_b32_e32 v2, s93
	v_add_co_u32_e32 v1, vcc, s92, v3
	v_addc_co_u32_e32 v2, vcc, v2, v4, vcc
	global_store_byte v[1:2], v13, off
.LBB0_76:                               ;   in Loop: Header=BB0_10 Depth=3
	v_mov_b32_e32 v2, s21
	v_add_co_u32_e32 v1, vcc, s20, v3
	v_addc_co_u32_e32 v2, vcc, v2, v4, vcc
	global_load_ubyte v21, v[1:2], off
	s_getpc_b64 s[2:3]
	s_add_u32 s2, s2, _ZL3C_p@gotpcrel32@lo+4
	s_addc_u32 s3, s3, _ZL3C_p@gotpcrel32@hi+12
	s_load_dwordx2 s[2:3], s[2:3], 0x0
	s_waitcnt lgkmcnt(0)
	v_mov_b32_e32 v23, s3
	s_waitcnt vmcnt(0)
	v_bfe_i32 v22, v21, 0, 8
	v_ashrrev_i32_e32 v24, 31, v22
	v_add_co_u32_e32 v22, vcc, s2, v22
	v_addc_co_u32_e32 v23, vcc, v23, v24, vcc
	global_load_sbyte v22, v[22:23], off
	s_nop 0
	global_load_sbyte v23, v7, s[68:69]
	s_waitcnt vmcnt(0)
	v_cmp_ge_i16_e32 vcc, v22, v23
	s_and_saveexec_b64 s[2:3], vcc
	s_xor_b64 s[8:9], exec, s[2:3]
	s_cbranch_execz .LBB0_85
; %bb.77:                               ;   in Loop: Header=BB0_10 Depth=3
	s_andn2_b64 vcc, exec, s[70:71]
	v_cmp_ne_u16_sdwa s[82:83], v21, v10 src0_sel:BYTE_0 src1_sel:DWORD
	s_cbranch_vccnz .LBB0_80
; %bb.78:                               ;   in Loop: Header=BB0_10 Depth=3
	v_add_u16_e32 v3, -9, v21
	v_readlane_b32 s86, v25, 23
	v_cmp_gt_u16_sdwa s[2:3], v3, s39 src0_sel:BYTE_0 src1_sel:DWORD
	v_readlane_b32 s87, v25, 24
	s_or_b64 s[2:3], s[86:87], s[2:3]
	s_and_b64 s[2:3], s[82:83], s[2:3]
	s_and_b64 s[2:3], s[2:3], exec
	s_cbranch_execz .LBB0_81
	s_branch .LBB0_82
.LBB0_79:                               ;   in Loop: Header=BB0_10 Depth=3
	s_branch .LBB0_90
.LBB0_80:                               ;   in Loop: Header=BB0_10 Depth=3
	s_mov_b64 s[2:3], 0
.LBB0_81:                               ;   in Loop: Header=BB0_10 Depth=3
	s_andn2_b64 s[2:3], s[2:3], exec
	s_and_b64 s[82:83], s[82:83], exec
	s_or_b64 s[2:3], s[2:3], s[82:83]
.LBB0_82:                               ;   in Loop: Header=BB0_10 Depth=3
	s_and_saveexec_b64 s[82:83], s[2:3]
	s_cbranch_execz .LBB0_84
; %bb.83:                               ;   in Loop: Header=BB0_10 Depth=3
	global_store_byte v[1:2], v9, off
.LBB0_84:                               ;   in Loop: Header=BB0_10 Depth=3
	s_or_b64 exec, exec, s[82:83]
                                        ; implicit-def: $vgpr1_vgpr2
                                        ; implicit-def: $vgpr3_vgpr4
.LBB0_85:                               ;   in Loop: Header=BB0_10 Depth=3
	s_andn2_saveexec_b64 s[8:9], s[8:9]
	s_cbranch_execz .LBB0_88
; %bb.86:                               ;   in Loop: Header=BB0_10 Depth=3
	v_mov_b32_e32 v21, s49
	s_andn2_b64 vcc, exec, s[72:73]
	global_store_byte v[1:2], v21, off
	s_cbranch_vccnz .LBB0_88
; %bb.87:                               ;   in Loop: Header=BB0_10 Depth=3
	v_lshlrev_b64 v[1:2], 2, v[3:4]
	v_mov_b32_e32 v3, s23
	v_add_co_u32_e32 v1, vcc, s22, v1
	v_addc_co_u32_e32 v2, vcc, v3, v2, vcc
	global_store_dword v[1:2], v10, off
.LBB0_88:                               ;   in Loop: Header=BB0_10 Depth=3
	s_or_b64 exec, exec, s[8:9]
.LBB0_89:                               ;   in Loop: Header=BB0_10 Depth=3
	s_cbranch_execnz .LBB0_9
.LBB0_90:                               ;   in Loop: Header=BB0_10 Depth=3
	v_max_i32_e32 v1, v19, v20
	v_mul_hi_u32 v2, v1, s38
	v_mul_lo_u32 v2, v2, s33
	v_sub_u32_e32 v1, v1, v2
	v_subrev_u32_e32 v2, s33, v1
	v_cmp_le_u32_e32 vcc, s33, v1
	v_cndmask_b32_e32 v1, v1, v2, vcc
	v_subrev_u32_e32 v2, s33, v1
	v_cmp_le_u32_e32 vcc, s33, v1
	v_cndmask_b32_e32 v1, v1, v2, vcc
	v_xor_b32_e32 v1, v1, v18
	v_sub_u32_e32 v1, v1, v18
	v_add_u32_e32 v3, v16, v1
	s_andn2_b64 vcc, exec, s[74:75]
	v_ashrrev_i32_e32 v4, 31, v3
	s_cbranch_vccnz .LBB0_92
; %bb.91:                               ;   in Loop: Header=BB0_10 Depth=3
	v_mov_b32_e32 v2, s93
	v_add_co_u32_e32 v1, vcc, s92, v3
	v_addc_co_u32_e32 v2, vcc, v2, v4, vcc
	global_store_byte v[1:2], v10, off
.LBB0_92:                               ;   in Loop: Header=BB0_10 Depth=3
	v_mov_b32_e32 v2, s21
	v_add_co_u32_e32 v1, vcc, s20, v3
	v_addc_co_u32_e32 v2, vcc, v2, v4, vcc
	global_load_ubyte v18, v[1:2], off
	s_getpc_b64 s[2:3]
	s_add_u32 s2, s2, _ZL3C_p@gotpcrel32@lo+4
	s_addc_u32 s3, s3, _ZL3C_p@gotpcrel32@hi+12
	s_load_dwordx2 s[2:3], s[2:3], 0x0
	s_waitcnt lgkmcnt(0)
	v_mov_b32_e32 v20, s3
	s_waitcnt vmcnt(0)
	v_bfe_i32 v19, v18, 0, 8
	v_ashrrev_i32_e32 v21, 31, v19
	v_add_co_u32_e32 v19, vcc, s2, v19
	v_addc_co_u32_e32 v20, vcc, v20, v21, vcc
	global_load_sbyte v19, v[19:20], off
	s_nop 0
	global_load_sbyte v20, v7, s[76:77]
	s_waitcnt vmcnt(0)
	v_cmp_ge_i16_e32 vcc, v19, v20
	s_and_saveexec_b64 s[2:3], vcc
	s_xor_b64 s[8:9], exec, s[2:3]
	s_cbranch_execz .LBB0_100
; %bb.93:                               ;   in Loop: Header=BB0_10 Depth=3
	s_andn2_b64 vcc, exec, s[78:79]
	v_cmp_ne_u16_sdwa s[82:83], v18, v10 src0_sel:BYTE_0 src1_sel:DWORD
	s_cbranch_vccnz .LBB0_95
; %bb.94:                               ;   in Loop: Header=BB0_10 Depth=3
	v_add_u16_e32 v3, -9, v18
	v_cmp_gt_u16_sdwa s[2:3], v3, s39 src0_sel:BYTE_0 src1_sel:DWORD
	s_or_b64 s[2:3], s[94:95], s[2:3]
	s_and_b64 s[2:3], s[82:83], s[2:3]
	s_and_b64 s[2:3], s[2:3], exec
	s_cbranch_execz .LBB0_96
	s_branch .LBB0_97
.LBB0_95:                               ;   in Loop: Header=BB0_10 Depth=3
	s_mov_b64 s[2:3], 0
.LBB0_96:                               ;   in Loop: Header=BB0_10 Depth=3
	s_andn2_b64 s[2:3], s[2:3], exec
	s_and_b64 s[82:83], s[82:83], exec
	s_or_b64 s[2:3], s[2:3], s[82:83]
.LBB0_97:                               ;   in Loop: Header=BB0_10 Depth=3
	s_and_saveexec_b64 s[82:83], s[2:3]
	s_cbranch_execz .LBB0_99
; %bb.98:                               ;   in Loop: Header=BB0_10 Depth=3
	global_store_byte v[1:2], v9, off
.LBB0_99:                               ;   in Loop: Header=BB0_10 Depth=3
	s_or_b64 exec, exec, s[82:83]
                                        ; implicit-def: $vgpr1_vgpr2
                                        ; implicit-def: $vgpr3_vgpr4
.LBB0_100:                              ;   in Loop: Header=BB0_10 Depth=3
	s_andn2_saveexec_b64 s[8:9], s[8:9]
	s_cbranch_execz .LBB0_8
; %bb.101:                              ;   in Loop: Header=BB0_10 Depth=3
	v_mov_b32_e32 v18, s48
	s_andn2_b64 vcc, exec, s[80:81]
	global_store_byte v[1:2], v18, off
	s_cbranch_vccnz .LBB0_8
; %bb.102:                              ;   in Loop: Header=BB0_10 Depth=3
	v_lshlrev_b64 v[1:2], 2, v[3:4]
	v_mov_b32_e32 v3, s23
	v_add_co_u32_e32 v1, vcc, s22, v1
	v_addc_co_u32_e32 v2, vcc, v3, v2, vcc
	global_store_dword v[1:2], v10, off
	s_branch .LBB0_8
.LBB0_103:
	s_endpgm
	.section	.rodata,"a",@progbits
	.p2align	6, 0x0
	.amdhsa_kernel _Z9make_flagPcPiS_5BoxCU10outer_walliiii
		.amdhsa_group_segment_fixed_size 0
		.amdhsa_private_segment_fixed_size 0
		.amdhsa_kernarg_size 344
		.amdhsa_user_sgpr_count 6
		.amdhsa_user_sgpr_private_segment_buffer 1
		.amdhsa_user_sgpr_dispatch_ptr 0
		.amdhsa_user_sgpr_queue_ptr 0
		.amdhsa_user_sgpr_kernarg_segment_ptr 1
		.amdhsa_user_sgpr_dispatch_id 0
		.amdhsa_user_sgpr_flat_scratch_init 0
		.amdhsa_user_sgpr_private_segment_size 0
		.amdhsa_uses_dynamic_stack 0
		.amdhsa_system_sgpr_private_segment_wavefront_offset 0
		.amdhsa_system_sgpr_workgroup_id_x 1
		.amdhsa_system_sgpr_workgroup_id_y 1
		.amdhsa_system_sgpr_workgroup_id_z 1
		.amdhsa_system_sgpr_workgroup_info 0
		.amdhsa_system_vgpr_workitem_id 1
		.amdhsa_next_free_vgpr 26
		.amdhsa_next_free_sgpr 96
		.amdhsa_reserve_vcc 1
		.amdhsa_reserve_flat_scratch 0
		.amdhsa_float_round_mode_32 0
		.amdhsa_float_round_mode_16_64 0
		.amdhsa_float_denorm_mode_32 3
		.amdhsa_float_denorm_mode_16_64 3
		.amdhsa_dx10_clamp 1
		.amdhsa_ieee_mode 1
		.amdhsa_fp16_overflow 0
		.amdhsa_exception_fp_ieee_invalid_op 0
		.amdhsa_exception_fp_denorm_src 0
		.amdhsa_exception_fp_ieee_div_zero 0
		.amdhsa_exception_fp_ieee_overflow 0
		.amdhsa_exception_fp_ieee_underflow 0
		.amdhsa_exception_fp_ieee_inexact 0
		.amdhsa_exception_int_div_zero 0
	.end_amdhsa_kernel
	.text
.Lfunc_end0:
	.size	_Z9make_flagPcPiS_5BoxCU10outer_walliiii, .Lfunc_end0-_Z9make_flagPcPiS_5BoxCU10outer_walliiii
                                        ; -- End function
	.set _Z9make_flagPcPiS_5BoxCU10outer_walliiii.num_vgpr, 26
	.set _Z9make_flagPcPiS_5BoxCU10outer_walliiii.num_agpr, 0
	.set _Z9make_flagPcPiS_5BoxCU10outer_walliiii.numbered_sgpr, 96
	.set _Z9make_flagPcPiS_5BoxCU10outer_walliiii.num_named_barrier, 0
	.set _Z9make_flagPcPiS_5BoxCU10outer_walliiii.private_seg_size, 0
	.set _Z9make_flagPcPiS_5BoxCU10outer_walliiii.uses_vcc, 1
	.set _Z9make_flagPcPiS_5BoxCU10outer_walliiii.uses_flat_scratch, 0
	.set _Z9make_flagPcPiS_5BoxCU10outer_walliiii.has_dyn_sized_stack, 0
	.set _Z9make_flagPcPiS_5BoxCU10outer_walliiii.has_recursion, 0
	.set _Z9make_flagPcPiS_5BoxCU10outer_walliiii.has_indirect_call, 0
	.section	.AMDGPU.csdata,"",@progbits
; Kernel info:
; codeLenInByte = 3820
; TotalNumSgprs: 100
; NumVgprs: 26
; ScratchSize: 0
; MemoryBound: 0
; FloatMode: 240
; IeeeMode: 1
; LDSByteSize: 0 bytes/workgroup (compile time only)
; SGPRBlocks: 12
; VGPRBlocks: 6
; NumSGPRsForWavesPerEU: 100
; NumVGPRsForWavesPerEU: 26
; Occupancy: 8
; WaveLimiterHint : 0
; COMPUTE_PGM_RSRC2:SCRATCH_EN: 0
; COMPUTE_PGM_RSRC2:USER_SGPR: 6
; COMPUTE_PGM_RSRC2:TRAP_HANDLER: 0
; COMPUTE_PGM_RSRC2:TGID_X_EN: 1
; COMPUTE_PGM_RSRC2:TGID_Y_EN: 1
; COMPUTE_PGM_RSRC2:TGID_Z_EN: 1
; COMPUTE_PGM_RSRC2:TIDIG_COMP_CNT: 1
	.section	.text._Z9find_wallILi19EEvPcS0_Pi5BoxCUi,"axG",@progbits,_Z9find_wallILi19EEvPcS0_Pi5BoxCUi,comdat
	.protected	_Z9find_wallILi19EEvPcS0_Pi5BoxCUi ; -- Begin function _Z9find_wallILi19EEvPcS0_Pi5BoxCUi
	.globl	_Z9find_wallILi19EEvPcS0_Pi5BoxCUi
	.p2align	8
	.type	_Z9find_wallILi19EEvPcS0_Pi5BoxCUi,@function
_Z9find_wallILi19EEvPcS0_Pi5BoxCUi:     ; @_Z9find_wallILi19EEvPcS0_Pi5BoxCUi
; %bb.0:
	s_load_dword s9, s[4:5], 0x2c
	s_add_u32 s0, s4, 24
	s_addc_u32 s1, s5, 0
	s_waitcnt lgkmcnt(0)
	s_cmp_ge_i32 s8, s9
	s_cbranch_scc1 .LBB1_118
; %bb.1:
	s_add_u32 s2, s4, 56
	s_addc_u32 s3, s5, 0
                                        ; implicit-def: $vgpr47 : SGPR spill to VGPR lane
	v_mov_b32_e32 v9, 0
	v_writelane_b32 v47, s2, 0
	v_writelane_b32 v47, s3, 1
	s_getpc_b64 s[2:3]
	s_add_u32 s2, s2, C_dirs@rel32@lo+7
	s_addc_u32 s3, s3, C_dirs@rel32@hi+15
	v_mov_b32_e32 v19, 4
	global_load_dwordx4 v[2:5], v9, s[2:3]
	s_getpc_b64 s[2:3]
	s_add_u32 s2, s2, C_dirs@rel32@lo+35
	s_addc_u32 s3, s3, C_dirs@rel32@hi+43
	s_getpc_b64 s[12:13]
	s_add_u32 s12, s12, C_dirs@rel32@lo+31
	s_addc_u32 s13, s13, C_dirs@rel32@hi+39
	global_load_ushort v17, v9, s[2:3]
	global_load_dword v6, v9, s[12:13]
	s_getpc_b64 s[2:3]
	s_add_u32 s2, s2, C_dirs@rel32@lo+23
	s_addc_u32 s3, s3, C_dirs@rel32@hi+31
	global_load_dwordx2 v[10:11], v9, s[2:3]
	s_getpc_b64 s[2:3]
	s_add_u32 s2, s2, C_dirs@rel32@lo+50
	s_addc_u32 s3, s3, C_dirs@rel32@hi+58
	global_load_ushort v18, v9, s[2:3]
	s_getpc_b64 s[2:3]
	s_add_u32 s2, s2, C_dirs@rel32@lo+38
	s_addc_u32 s3, s3, C_dirs@rel32@hi+46
	global_load_dwordx2 v[13:14], v9, s[2:3]
	s_getpc_b64 s[2:3]
	s_add_u32 s2, s2, C_dirs@rel32@lo+46
	s_addc_u32 s3, s3, C_dirs@rel32@hi+54
	global_load_dword v7, v9, s[2:3]
	s_getpc_b64 s[2:3]
	s_add_u32 s2, s2, C_dirs@rel32@lo+53
	s_addc_u32 s3, s3, C_dirs@rel32@hi+61
	global_load_dwordx2 v[15:16], v9, s[2:3]
	s_load_dwordx2 s[10:11], s[4:5], 0x3c
	s_load_dword s12, s[4:5], 0x44
	s_load_dword s33, s[0:1], 0x4
	;; [unrolled: 1-line block ×3, first 2 shown]
	s_getpc_b64 s[0:1]
	s_add_u32 s0, s0, C_dirs@rel32@lo+37
	s_addc_u32 s1, s1, C_dirs@rel32@hi+45
	s_getpc_b64 s[2:3]
	s_add_u32 s2, s2, C_dirs@rel32@lo+52
	s_addc_u32 s3, s3, C_dirs@rel32@hi+60
	global_load_sbyte v8, v9, s[0:1]
	global_load_sbyte v12, v9, s[2:3]
	s_waitcnt lgkmcnt(0)
	s_lshr_b32 s0, s12, 16
	s_mul_i32 s1, s7, s0
	s_abs_i32 s65, s34
	s_abs_i32 s68, s9
	;; [unrolled: 1-line block ×3, first 2 shown]
	s_mul_i32 s7, s10, s0
	v_add_u32_e32 v9, s1, v1
	v_cvt_f32_u32_e32 v1, s65
	s_mov_b32 s3, s11
	v_writelane_b32 v47, s2, 2
	v_writelane_b32 v47, s3, 3
	v_rcp_iflag_f32_e32 v1, v1
	v_cmp_gt_i32_e32 vcc, s34, v9
	v_mul_f32_e32 v1, 0x4f7ffffe, v1
	v_cvt_u32_f32_e32 v1, v1
	s_waitcnt vmcnt(9)
	v_readfirstlane_b32 s0, v2
	v_readfirstlane_b32 s1, v3
	v_cvt_f32_u32_e32 v2, s68
	v_cvt_f32_u32_e32 v3, s69
	s_waitcnt vmcnt(8)
	v_readfirstlane_b32 s12, v17
	s_and_b32 s12, 0xffff, s12
	v_rcp_iflag_f32_e32 v2, v2
	v_rcp_iflag_f32_e32 v3, v3
	s_waitcnt vmcnt(6)
	v_readfirstlane_b32 s13, v11
	v_readfirstlane_b32 s14, v10
	v_mul_f32_e32 v2, 0x4f7ffffe, v2
	v_mul_f32_e32 v3, 0x4f7ffffe, v3
	v_cvt_u32_f32_e32 v3, v3
	v_cvt_u32_f32_e32 v2, v2
	v_readfirstlane_b32 s15, v6
	s_waitcnt vmcnt(5)
	v_readfirstlane_b32 s18, v18
	s_waitcnt vmcnt(4)
	v_readfirstlane_b32 s19, v14
	v_readfirstlane_b32 s20, v13
	s_bfe_i32 s60, s12, 0x80008
	s_sext_i32_i8 s61, s12
	s_waitcnt vmcnt(2)
	v_readfirstlane_b32 s12, v15
	s_bfe_i32 s44, s14, 0x80008
	s_sext_i32_i8 s45, s14
	s_bfe_i32 s24, s14, 0x80010
	s_ashr_i32 s46, s14, 24
	s_sext_i32_i8 s47, s13
	s_bfe_i32 s14, s13, 0x80008
	s_ashr_i32 s48, s13, 24
	s_bfe_i32 s49, s13, 0x80010
	s_bfe_i32 s50, s15, 0x80010
	s_bfe_i32 s51, s15, 0x80008
	s_and_b32 s13, 0xffff, s18
	s_bfe_i32 s52, s20, 0x80008
	s_sext_i32_i8 s53, s20
	s_bfe_i32 s15, s20, 0x80010
	s_ashr_i32 s54, s20, 24
	s_sext_i32_i8 s55, s19
	s_bfe_i32 s18, s19, 0x80008
	s_ashr_i32 s56, s19, 24
	s_bfe_i32 s57, s19, 0x80010
	s_bfe_i32 s64, s12, 0x80008
	s_sext_i32_i8 s66, s12
	s_bfe_i32 s19, s12, 0x80010
	s_ashr_i32 s67, s12, 24
	s_sub_i32 s12, 0, s65
	s_sub_i32 s20, 0, s69
	v_readfirstlane_b32 s2, v4
	v_readfirstlane_b32 s3, v5
	v_mul_lo_u32 v4, s12, v1
	s_sub_i32 s12, 0, s68
	v_mul_lo_u32 v5, s20, v3
	v_readfirstlane_b32 s20, v2
	s_mul_i32 s12, s12, s20
	s_bfe_i32 s62, s13, 0x80008
	s_sext_i32_i8 s63, s13
	v_readfirstlane_b32 s13, v16
	s_mul_hi_u32 s12, s20, s12
	s_add_i32 s70, s20, s12
	s_bfe_i32 s12, s13, 0x80008
	s_sext_i32_i8 s71, s13
	v_mul_hi_u32 v2, v1, v4
	v_mul_hi_u32 v4, v3, v5
	s_ashr_i32 s72, s13, 24
	s_bfe_i32 s73, s13, 0x80010
	s_add_i32 s74, s33, s12
	s_add_i32 s75, s33, s19
	;; [unrolled: 1-line block ×5, first 2 shown]
	s_load_dwordx2 s[18:19], s[4:5], 0x10
	s_load_dwordx4 s[12:15], s[4:5], 0x0
	v_readfirstlane_b32 s21, v7
	s_sext_i32_i8 s22, s0
	s_bfe_i32 s16, s0, 0x80010
	s_bfe_i32 s35, s0, 0x80008
	s_ashr_i32 s0, s0, 24
	s_bfe_i32 s36, s1, 0x80008
	s_sext_i32_i8 s37, s1
	s_bfe_i32 s23, s1, 0x80010
	s_ashr_i32 s38, s1, 24
	s_sext_i32_i8 s39, s2
	s_bfe_i32 s1, s2, 0x80008
	s_ashr_i32 s40, s2, 24
	s_bfe_i32 s41, s2, 0x80010
	s_sext_i32_i8 s2, s3
	s_bfe_i32 s42, s3, 0x80010
	s_bfe_i32 s43, s3, 0x80008
	s_ashr_i32 s3, s3, 24
	s_bfe_i32 s58, s21, 0x80010
	s_bfe_i32 s59, s21, 0x80008
	v_add_u32_e32 v10, v1, v2
	v_add_u32_e32 v11, v3, v4
	s_waitcnt vmcnt(0)
	v_add_u32_e32 v12, s33, v12
	v_add_u32_sdwa v13, s33, sext(v7) dst_sel:DWORD dst_unused:UNUSED_PAD src0_sel:DWORD src1_sel:BYTE_3
	v_add_u32_sdwa v14, s33, sext(v7) dst_sel:DWORD dst_unused:UNUSED_PAD src0_sel:DWORD src1_sel:BYTE_0
	v_add_u32_e32 v15, s33, v8
	v_add_u32_sdwa v16, s33, sext(v6) dst_sel:DWORD dst_unused:UNUSED_PAD src0_sel:DWORD src1_sel:BYTE_3
	v_add_u32_sdwa v17, s33, sext(v6) dst_sel:DWORD dst_unused:UNUSED_PAD src0_sel:DWORD src1_sel:BYTE_0
	s_add_i32 s79, s33, s24
	s_add_i32 s80, s33, s3
	;; [unrolled: 1-line block ×7, first 2 shown]
	v_mov_b32_e32 v18, 3
	s_branch .LBB1_3
.LBB1_2:                                ;   in Loop: Header=BB1_3 Depth=1
	s_or_b64 exec, exec, s[4:5]
	v_readlane_b32 s0, v47, 2
	v_readlane_b32 s1, v47, 3
	s_add_i32 s8, s1, s8
	s_cmp_ge_i32 s8, s9
	s_cbranch_scc1 .LBB1_118
.LBB1_3:                                ; =>This Loop Header: Depth=1
                                        ;     Child Loop BB1_6 Depth 2
                                        ;       Child Loop BB1_10 Depth 3
	s_and_saveexec_b64 s[4:5], vcc
	s_cbranch_execz .LBB1_2
; %bb.4:                                ;   in Loop: Header=BB1_3 Depth=1
	v_readlane_b32 s2, v47, 0
	v_readlane_b32 s3, v47, 1
	s_add_i32 s10, s8, s9
	s_load_dword s0, s[2:3], 0xc
	s_load_dword s87, s[2:3], 0x0
	s_abs_i32 s3, s10
	s_mul_hi_u32 s20, s3, s70
	s_mul_i32 s20, s20, s68
	s_sub_i32 s3, s3, s20
	s_ashr_i32 s2, s10, 31
	s_waitcnt lgkmcnt(0)
	s_and_b32 s0, s0, 0xffff
	s_sub_i32 s20, s3, s68
	s_cmp_ge_u32 s3, s68
	s_cselect_b32 s3, s20, s3
	s_sub_i32 s20, s3, s68
	s_cmp_ge_u32 s3, s68
	s_cselect_b32 s3, s20, s3
	s_mul_i32 s1, s6, s0
	s_xor_b32 s3, s3, s2
	v_add_u32_e32 v20, s1, v0
	s_sub_i32 s88, s3, s2
	s_mul_i32 s87, s87, s0
	v_cmp_gt_i32_e64 s[0:1], s33, v20
	s_mul_i32 s88, s88, s34
	s_mov_b64 s[20:21], 0
	v_mov_b32_e32 v21, v9
	s_branch .LBB1_6
.LBB1_5:                                ;   in Loop: Header=BB1_6 Depth=2
	s_or_b64 exec, exec, s[22:23]
	v_add_u32_e32 v21, s7, v21
	v_cmp_le_i32_e64 s[2:3], s34, v21
	s_or_b64 s[20:21], s[2:3], s[20:21]
	s_andn2_b64 exec, exec, s[20:21]
	s_cbranch_execz .LBB1_2
.LBB1_6:                                ;   Parent Loop BB1_3 Depth=1
                                        ; =>  This Loop Header: Depth=2
                                        ;       Child Loop BB1_10 Depth 3
	s_and_saveexec_b64 s[22:23], s[0:1]
	s_cbranch_execz .LBB1_5
; %bb.7:                                ;   in Loop: Header=BB1_6 Depth=2
	v_add_u32_e32 v2, s34, v21
	v_sub_u32_e32 v1, 0, v2
	v_max_i32_e32 v1, v2, v1
	v_mul_hi_u32 v3, v1, v10
	v_add_u32_e32 v5, s35, v2
	v_ashrrev_i32_e32 v4, 31, v2
	v_add_u32_e32 v27, s37, v2
	v_mul_lo_u32 v3, v3, s65
	v_add_u32_e32 v28, s38, v2
	v_add_u32_e32 v6, s41, v2
	;; [unrolled: 1-line block ×3, first 2 shown]
	v_sub_u32_e32 v1, v1, v3
	v_subrev_u32_e32 v3, s65, v1
	v_cmp_le_u32_e64 s[2:3], s65, v1
	v_cndmask_b32_e64 v1, v1, v3, s[2:3]
	v_subrev_u32_e32 v3, s65, v1
	v_cmp_le_u32_e64 s[2:3], s65, v1
	v_cndmask_b32_e64 v1, v1, v3, s[2:3]
	v_sub_u32_e32 v3, 0, v5
	v_xor_b32_e32 v1, v1, v4
	v_max_i32_e32 v3, v5, v3
	v_sub_u32_e32 v1, v1, v4
	v_mul_hi_u32 v4, v3, v10
	v_ashrrev_i32_e32 v5, 31, v5
	v_add_u32_e32 v8, s45, v2
	v_add_u32_e32 v26, s46, v2
	v_mul_lo_u32 v4, v4, s65
	v_add_u32_e32 v25, s49, v2
	v_add_u32_e32 v24, s51, v2
	;; [unrolled: 1-line block ×3, first 2 shown]
	v_sub_u32_e32 v3, v3, v4
	v_subrev_u32_e32 v4, s65, v3
	v_cmp_le_u32_e64 s[2:3], s65, v3
	v_cndmask_b32_e64 v3, v3, v4, s[2:3]
	v_sub_u32_e32 v4, 0, v27
	v_max_i32_e32 v4, v27, v4
	v_mul_hi_u32 v29, v4, v10
	v_subrev_u32_e32 v30, s65, v3
	v_cmp_le_u32_e64 s[2:3], s65, v3
	v_cndmask_b32_e64 v3, v3, v30, s[2:3]
	v_mul_lo_u32 v29, v29, s65
	v_xor_b32_e32 v3, v3, v5
	v_sub_u32_e32 v3, v3, v5
	v_ashrrev_i32_e32 v5, 31, v27
	v_sub_u32_e32 v4, v4, v29
	v_subrev_u32_e32 v27, s65, v4
	v_cmp_le_u32_e64 s[2:3], s65, v4
	v_cndmask_b32_e64 v4, v4, v27, s[2:3]
	v_sub_u32_e32 v27, 0, v28
	v_max_i32_e32 v27, v28, v27
	v_mul_hi_u32 v29, v27, v10
	v_subrev_u32_e32 v30, s65, v4
	v_cmp_le_u32_e64 s[2:3], s65, v4
	v_cndmask_b32_e64 v4, v4, v30, s[2:3]
	v_mul_lo_u32 v29, v29, s65
	v_xor_b32_e32 v4, v4, v5
	v_sub_u32_e32 v4, v4, v5
	v_ashrrev_i32_e32 v5, 31, v28
	;; [unrolled: 14-line block ×7, first 2 shown]
	v_sub_u32_e32 v26, v28, v30
	v_subrev_u32_e32 v27, s65, v26
	v_cmp_le_u32_e64 s[2:3], s65, v26
	v_cndmask_b32_e64 v26, v26, v27, s[2:3]
	v_sub_u32_e32 v27, 0, v24
	v_max_i32_e32 v27, v24, v27
	v_mul_hi_u32 v28, v27, v10
	v_subrev_u32_e32 v30, s65, v26
	v_cmp_le_u32_e64 s[2:3], s65, v26
	v_cndmask_b32_e64 v26, v26, v30, s[2:3]
	v_mul_lo_u32 v28, v28, s65
	v_xor_b32_e32 v26, v26, v25
	v_sub_u32_e32 v30, v26, v25
	v_add_u32_e32 v22, s53, v2
	v_sub_u32_e32 v25, v27, v28
	v_sub_u32_e32 v27, 0, v23
	v_max_i32_e32 v27, v23, v27
	v_mul_hi_u32 v28, v27, v10
	v_subrev_u32_e32 v26, s65, v25
	v_cmp_le_u32_e64 s[2:3], s65, v25
	v_cndmask_b32_e64 v25, v25, v26, s[2:3]
	v_mul_lo_u32 v28, v28, s65
	v_subrev_u32_e32 v26, s65, v25
	v_cmp_le_u32_e64 s[2:3], s65, v25
	v_ashrrev_i32_e32 v24, 31, v24
	v_cndmask_b32_e64 v25, v25, v26, s[2:3]
	v_sub_u32_e32 v26, 0, v22
	v_xor_b32_e32 v25, v25, v24
	v_max_i32_e32 v26, v22, v26
	v_sub_u32_e32 v31, v25, v24
	v_sub_u32_e32 v24, v27, v28
	v_mul_hi_u32 v27, v26, v10
	v_subrev_u32_e32 v25, s65, v24
	v_cmp_le_u32_e64 s[2:3], s65, v24
	v_cndmask_b32_e64 v24, v24, v25, s[2:3]
	v_mul_lo_u32 v27, v27, s65
	v_subrev_u32_e32 v25, s65, v24
	v_cmp_le_u32_e64 s[2:3], s65, v24
	v_cndmask_b32_e64 v24, v24, v25, s[2:3]
	v_ashrrev_i32_e32 v23, 31, v23
	v_add_u32_e32 v25, s54, v2
	v_xor_b32_e32 v24, v24, v23
	v_sub_u32_e32 v32, v24, v23
	v_sub_u32_e32 v23, v26, v27
	;; [unrolled: 1-line block ×3, first 2 shown]
	v_max_i32_e32 v26, v25, v26
	v_mul_hi_u32 v27, v26, v10
	v_subrev_u32_e32 v24, s65, v23
	v_cmp_le_u32_e64 s[2:3], s65, v23
	v_cndmask_b32_e64 v23, v23, v24, s[2:3]
	v_subrev_u32_e32 v24, s65, v23
	v_cmp_le_u32_e64 s[2:3], s65, v23
	v_cndmask_b32_e64 v23, v23, v24, s[2:3]
	v_mul_lo_u32 v24, v27, s65
	v_ashrrev_i32_e32 v22, 31, v22
	v_xor_b32_e32 v23, v23, v22
	v_sub_u32_e32 v33, v23, v22
	v_add_u32_e32 v22, s57, v2
	v_sub_u32_e32 v24, v26, v24
	v_sub_u32_e32 v26, 0, v22
	v_max_i32_e32 v26, v22, v26
	v_mul_hi_u32 v27, v26, v10
	v_ashrrev_i32_e32 v23, 31, v25
	v_subrev_u32_e32 v25, s65, v24
	v_cmp_le_u32_e64 s[2:3], s65, v24
	v_cndmask_b32_e64 v24, v24, v25, s[2:3]
	v_mul_lo_u32 v27, v27, s65
	v_subrev_u32_e32 v25, s65, v24
	v_cmp_le_u32_e64 s[2:3], s65, v24
	v_cndmask_b32_e64 v24, v24, v25, s[2:3]
	v_xor_b32_e32 v24, v24, v23
	v_sub_u32_e32 v34, v24, v23
	v_sub_u32_e32 v23, v26, v27
	v_subrev_u32_e32 v24, s65, v23
	v_cmp_le_u32_e64 s[2:3], s65, v23
	v_cndmask_b32_e64 v23, v23, v24, s[2:3]
	v_add_u32_e32 v24, s59, v2
	v_sub_u32_e32 v25, 0, v24
	v_max_i32_e32 v25, v24, v25
	v_mul_hi_u32 v26, v25, v10
	v_subrev_u32_e32 v27, s65, v23
	v_cmp_le_u32_e64 s[2:3], s65, v23
	v_cndmask_b32_e64 v23, v23, v27, s[2:3]
	v_mul_lo_u32 v26, v26, s65
	v_ashrrev_i32_e32 v22, 31, v22
	v_xor_b32_e32 v23, v23, v22
	v_sub_u32_e32 v35, v23, v22
	v_sub_u32_e32 v22, v25, v26
	v_subrev_u32_e32 v23, s65, v22
	v_cmp_le_u32_e64 s[2:3], s65, v22
	v_cndmask_b32_e64 v22, v22, v23, s[2:3]
	v_add_u32_e32 v23, s63, v2
	v_sub_u32_e32 v25, 0, v23
	v_max_i32_e32 v25, v23, v25
	v_mul_hi_u32 v26, v25, v10
	v_subrev_u32_e32 v27, s65, v22
	v_cmp_le_u32_e64 s[2:3], s65, v22
	v_cndmask_b32_e64 v22, v22, v27, s[2:3]
	v_mul_lo_u32 v26, v26, s65
	v_ashrrev_i32_e32 v24, 31, v24
	v_xor_b32_e32 v22, v22, v24
	v_sub_u32_e32 v36, v22, v24
	v_sub_u32_e32 v22, v25, v26
	v_subrev_u32_e32 v24, s65, v22
	v_cmp_le_u32_e64 s[2:3], s65, v22
	v_cndmask_b32_e64 v22, v22, v24, s[2:3]
	v_add_u32_e32 v24, s66, v2
	v_sub_u32_e32 v25, 0, v24
	v_max_i32_e32 v25, v24, v25
	v_mul_hi_u32 v26, v25, v10
	v_subrev_u32_e32 v27, s65, v22
	v_cmp_le_u32_e64 s[2:3], s65, v22
	v_cndmask_b32_e64 v22, v22, v27, s[2:3]
	v_mul_lo_u32 v26, v26, s65
	v_ashrrev_i32_e32 v23, 31, v23
	v_xor_b32_e32 v22, v22, v23
	v_sub_u32_e32 v37, v22, v23
	v_sub_u32_e32 v22, v25, v26
	v_subrev_u32_e32 v23, s65, v22
	v_cmp_le_u32_e64 s[2:3], s65, v22
	v_cndmask_b32_e64 v22, v22, v23, s[2:3]
	v_add_u32_e32 v23, s67, v2
	v_sub_u32_e32 v25, 0, v23
	v_max_i32_e32 v25, v23, v25
	v_mul_hi_u32 v26, v25, v10
	v_subrev_u32_e32 v27, s65, v22
	v_cmp_le_u32_e64 s[2:3], s65, v22
	v_cndmask_b32_e64 v22, v22, v27, s[2:3]
	v_mul_lo_u32 v26, v26, s65
	v_ashrrev_i32_e32 v24, 31, v24
	v_xor_b32_e32 v22, v22, v24
	v_sub_u32_e32 v38, v22, v24
	v_sub_u32_e32 v22, v25, v26
	v_subrev_u32_e32 v24, s65, v22
	v_cmp_le_u32_e64 s[2:3], s65, v22
	v_cndmask_b32_e64 v22, v22, v24, s[2:3]
	v_add_u32_e32 v24, s73, v2
	v_sub_u32_e32 v2, 0, v24
	v_max_i32_e32 v25, v24, v2
	v_mul_hi_u32 v2, v25, v10
	v_subrev_u32_e32 v26, s65, v22
	v_cmp_le_u32_e64 s[2:3], s65, v22
	v_cndmask_b32_e64 v22, v22, v26, s[2:3]
	v_mul_lo_u32 v26, v2, s65
	v_ashrrev_i32_e32 v2, 31, v23
	v_xor_b32_e32 v22, v22, v2
	s_add_i32 s28, s10, s16
	v_sub_u32_e32 v2, v22, v2
	v_sub_u32_e32 v22, v25, v26
	s_ashr_i32 s11, s28, 31
	s_abs_i32 s28, s28
	v_subrev_u32_e32 v23, s65, v22
	v_cmp_le_u32_e64 s[2:3], s65, v22
	s_mul_hi_u32 s17, s28, s70
	v_cndmask_b32_e64 v22, v22, v23, s[2:3]
	s_mul_i32 s17, s17, s68
	v_subrev_u32_e32 v23, s65, v22
	v_cmp_le_u32_e64 s[2:3], s65, v22
	s_sub_i32 s17, s28, s17
	v_cndmask_b32_e64 v22, v22, v23, s[2:3]
	s_add_i32 s29, s10, s36
	s_add_i32 s30, s10, s39
	;; [unrolled: 1-line block ×17, first 2 shown]
	s_sub_i32 s28, s17, s68
	s_cmp_ge_u32 s17, s68
	s_cselect_b32 s17, s28, s17
	s_sub_i32 s28, s17, s68
	s_cmp_ge_u32 s17, s68
	s_cselect_b32 s17, s28, s17
	s_xor_b32 s17, s17, s11
	s_sub_i32 s11, s17, s11
	s_abs_i32 s17, s29
	s_mul_hi_u32 s28, s17, s70
	v_ashrrev_i32_e32 v23, 31, v24
	s_mul_i32 s28, s28, s68
	v_xor_b32_e32 v22, v22, v23
	v_add_u32_e32 v1, s88, v1
	s_mul_i32 s11, s11, s34
	s_sub_i32 s17, s17, s28
	v_sub_u32_e32 v40, v22, v23
	v_mul_lo_u32 v22, v1, s33
	v_add_u32_e32 v1, s11, v3
	s_ashr_i32 s11, s29, 31
	s_sub_i32 s28, s17, s68
	s_cmp_ge_u32 s17, s68
	s_cselect_b32 s17, s28, s17
	s_sub_i32 s28, s17, s68
	s_cmp_ge_u32 s17, s68
	s_cselect_b32 s17, s28, s17
	s_xor_b32 s17, s17, s11
	s_sub_i32 s11, s17, s11
	s_abs_i32 s17, s30
	s_mul_hi_u32 s28, s17, s70
	s_mul_i32 s28, s28, s68
	s_mul_i32 s11, s11, s34
	s_sub_i32 s17, s17, s28
	v_mul_lo_u32 v23, v1, s33
	v_add_u32_e32 v1, s11, v4
	s_ashr_i32 s11, s30, 31
	s_sub_i32 s28, s17, s68
	s_cmp_ge_u32 s17, s68
	s_cselect_b32 s17, s28, s17
	s_sub_i32 s28, s17, s68
	s_cmp_ge_u32 s17, s68
	s_cselect_b32 s17, s28, s17
	s_xor_b32 s17, s17, s11
	s_sub_i32 s11, s17, s11
	s_abs_i32 s17, s31
	s_mul_hi_u32 s28, s17, s70
	s_mul_i32 s28, s28, s68
	s_mul_i32 s11, s11, s34
	s_sub_i32 s17, s17, s28
	;; [unrolled: 16-line block ×10, first 2 shown]
	v_mul_lo_u32 v32, v1, s33
	v_add_u32_e32 v1, s11, v33
	s_ashr_i32 s11, s86, 31
	s_sub_i32 s28, s17, s68
	s_cmp_ge_u32 s17, s68
	s_cselect_b32 s17, s28, s17
	s_sub_i32 s28, s17, s68
	s_cmp_ge_u32 s17, s68
	s_cselect_b32 s17, s28, s17
	s_xor_b32 s17, s17, s11
	s_sub_i32 s11, s17, s11
	s_mul_i32 s11, s11, s34
	s_abs_i32 s17, s27
	v_mul_lo_u32 v33, v1, s33
	v_add_u32_e32 v1, s11, v34
	s_ashr_i32 s11, s27, 31
	s_mul_hi_u32 s27, s17, s70
	s_mul_i32 s27, s27, s68
	s_sub_i32 s17, s17, s27
	s_sub_i32 s27, s17, s68
	s_cmp_ge_u32 s17, s68
	s_cselect_b32 s17, s27, s17
	s_sub_i32 s27, s17, s68
	s_cmp_ge_u32 s17, s68
	s_cselect_b32 s17, s27, s17
	s_xor_b32 s17, s17, s11
	s_sub_i32 s11, s17, s11
	s_mul_i32 s11, s11, s34
	s_abs_i32 s17, s26
	v_mul_lo_u32 v34, v1, s33
	v_add_u32_e32 v1, s11, v35
	s_ashr_i32 s11, s26, 31
	s_mul_hi_u32 s26, s17, s70
	s_mul_i32 s26, s26, s68
	s_sub_i32 s17, s17, s26
	;; [unrolled: 16-line block ×4, first 2 shown]
	s_sub_i32 s24, s17, s68
	s_cmp_ge_u32 s17, s68
	s_cselect_b32 s17, s24, s17
	s_sub_i32 s24, s17, s68
	s_cmp_ge_u32 s17, s68
	s_cselect_b32 s17, s24, s17
	s_xor_b32 s17, s17, s11
	s_sub_i32 s11, s17, s11
	s_mul_i32 s11, s11, s34
	v_mul_lo_u32 v37, v1, s33
	v_add_u32_e32 v1, s11, v38
	s_ashr_i32 s11, s3, 31
	s_abs_i32 s3, s3
	s_mul_hi_u32 s17, s3, s70
	s_mul_i32 s17, s17, s68
	s_sub_i32 s3, s3, s17
	s_sub_i32 s17, s3, s68
	s_cmp_ge_u32 s3, s68
	s_cselect_b32 s3, s17, s3
	s_sub_i32 s17, s3, s68
	s_cmp_ge_u32 s3, s68
	s_cselect_b32 s3, s17, s3
	s_xor_b32 s3, s3, s11
	s_sub_i32 s3, s3, s11
	s_mul_i32 s3, s3, s34
	v_mul_lo_u32 v38, v1, s33
	v_add_u32_e32 v1, s3, v2
	s_ashr_i32 s3, s2, 31
	s_abs_i32 s2, s2
	s_mul_hi_u32 s11, s2, s70
	s_mul_i32 s11, s11, s68
	s_sub_i32 s2, s2, s11
	s_sub_i32 s11, s2, s68
	s_cmp_ge_u32 s2, s68
	s_cselect_b32 s2, s11, s2
	s_sub_i32 s11, s2, s68
	s_cmp_ge_u32 s2, s68
	s_cselect_b32 s2, s11, s2
	s_xor_b32 s2, s2, s3
	s_sub_i32 s2, s2, s3
	s_mul_i32 s2, s2, s34
	v_mul_lo_u32 v39, v1, s33
	v_add_u32_e32 v1, s2, v40
	v_mul_lo_u32 v40, v1, s33
	s_mov_b64 s[24:25], 0
	v_mov_b32_e32 v41, v20
	s_branch .LBB1_10
.LBB1_8:                                ;   in Loop: Header=BB1_10 Depth=3
	s_or_b64 exec, exec, s[28:29]
	global_load_ushort v1, v[3:4], off
	s_waitcnt vmcnt(0)
	v_or_b32_e32 v1, 0x200, v1
	global_store_short v[3:4], v1, off
.LBB1_9:                                ;   in Loop: Header=BB1_10 Depth=3
	s_or_b64 exec, exec, s[26:27]
	v_add_u32_e32 v41, s87, v41
	v_cmp_le_i32_e64 s[2:3], s33, v41
	s_or_b64 s[24:25], s[2:3], s[24:25]
	s_andn2_b64 exec, exec, s[24:25]
	s_cbranch_execz .LBB1_5
.LBB1_10:                               ;   Parent Loop BB1_3 Depth=1
                                        ;     Parent Loop BB1_6 Depth=2
                                        ; =>    This Inner Loop Header: Depth=3
	v_add_u32_e32 v1, s33, v41
	v_sub_u32_e32 v2, 0, v1
	v_max_i32_e32 v2, v1, v2
	v_mul_hi_u32 v3, v2, v11
	v_ashrrev_i32_e32 v1, 31, v1
	v_mov_b32_e32 v5, s13
	v_mul_lo_u32 v3, v3, s69
	v_sub_u32_e32 v2, v2, v3
	v_subrev_u32_e32 v3, s69, v2
	v_cmp_le_u32_e64 s[2:3], s69, v2
	v_cndmask_b32_e64 v2, v2, v3, s[2:3]
	v_subrev_u32_e32 v3, s69, v2
	v_cmp_le_u32_e64 s[2:3], s69, v2
	v_cndmask_b32_e64 v2, v2, v3, s[2:3]
	v_xor_b32_e32 v2, v2, v1
	v_sub_u32_e32 v1, v2, v1
	v_add_u32_e32 v3, v22, v1
	v_ashrrev_i32_e32 v4, 31, v3
	v_add_co_u32_e64 v1, s[2:3], s12, v3
	v_addc_co_u32_e64 v2, s[2:3], v5, v4, s[2:3]
	global_load_sbyte v42, v[1:2], off
	s_waitcnt vmcnt(0)
	v_cmp_gt_i16_e64 s[2:3], 4, v42
	s_and_saveexec_b64 s[26:27], s[2:3]
	s_cbranch_execz .LBB1_9
; %bb.11:                               ;   in Loop: Header=BB1_10 Depth=3
	v_add_u32_e32 v5, s85, v41
	v_sub_u32_e32 v6, 0, v5
	v_max_i32_e32 v6, v5, v6
	v_mul_hi_u32 v7, v6, v11
	v_ashrrev_i32_e32 v5, 31, v5
	v_mov_b32_e32 v8, s13
	v_mov_b32_e32 v46, s19
	v_mul_lo_u32 v7, v7, s69
	v_sub_u32_e32 v6, v6, v7
	v_subrev_u32_e32 v7, s69, v6
	v_cmp_le_u32_e64 s[2:3], s69, v6
	v_cndmask_b32_e64 v6, v6, v7, s[2:3]
	v_subrev_u32_e32 v7, s69, v6
	v_cmp_le_u32_e64 s[2:3], s69, v6
	v_cndmask_b32_e64 v6, v6, v7, s[2:3]
	v_xor_b32_e32 v6, v6, v5
	v_sub_u32_e32 v5, v6, v5
	v_add_u32_e32 v43, v23, v5
	v_ashrrev_i32_e32 v44, 31, v43
	v_add_co_u32_e64 v7, s[2:3], s12, v43
	v_addc_co_u32_e64 v8, s[2:3], v8, v44, s[2:3]
	global_load_ubyte v45, v[7:8], off
	v_mov_b32_e32 v6, s15
	v_add_co_u32_e64 v5, s[2:3], s14, v3
	v_addc_co_u32_e64 v6, s[2:3], v6, v4, s[2:3]
	v_lshlrev_b64 v[3:4], 2, v[3:4]
	v_add_co_u32_e64 v3, s[2:3], s18, v3
	v_addc_co_u32_e64 v4, s[2:3], v46, v4, s[2:3]
	s_waitcnt vmcnt(0)
	v_cmp_eq_u16_e64 s[2:3], 10, v45
	s_and_saveexec_b64 s[28:29], s[2:3]
	s_cbranch_execz .LBB1_13
; %bb.12:                               ;   in Loop: Header=BB1_10 Depth=3
	v_mov_b32_e32 v42, 2
	v_mov_b32_e32 v45, s15
	v_add_co_u32_e64 v43, s[2:3], s14, v43
	v_addc_co_u32_e64 v44, s[2:3], v45, v44, s[2:3]
	global_load_ushort v46, v[3:4], off
	s_nop 0
	global_load_ubyte v43, v[43:44], off
	s_nop 0
	global_store_byte v[1:2], v42, off
	global_load_ubyte v45, v[7:8], off
	s_waitcnt vmcnt(3)
	v_or_b32_e32 v7, 0x400, v46
	s_waitcnt vmcnt(2)
	global_store_byte v[5:6], v43, off
	global_store_short v[3:4], v7, off
.LBB1_13:                               ;   in Loop: Header=BB1_10 Depth=3
	s_or_b64 exec, exec, s[28:29]
	s_waitcnt vmcnt(2)
	v_cmp_eq_u16_sdwa s[2:3], v45, v19 src0_sel:BYTE_0 src1_sel:DWORD
	s_and_saveexec_b64 s[28:29], s[2:3]
	s_cbranch_execz .LBB1_17
; %bb.14:                               ;   in Loop: Header=BB1_10 Depth=3
	v_mov_b32_e32 v7, 2
	v_cmp_ne_u16_e64 s[2:3], 2, v42
	s_and_saveexec_b64 s[30:31], s[2:3]
	s_cbranch_execz .LBB1_16
; %bb.15:                               ;   in Loop: Header=BB1_10 Depth=3
	v_mov_b32_e32 v7, 3
	global_store_byte v[1:2], v7, off
.LBB1_16:                               ;   in Loop: Header=BB1_10 Depth=3
	s_or_b64 exec, exec, s[30:31]
	global_load_ushort v8, v[3:4], off
	v_mov_b32_e32 v42, v7
	s_waitcnt vmcnt(0)
	v_or_b32_e32 v8, 0x400, v8
	global_store_short v[3:4], v8, off
.LBB1_17:                               ;   in Loop: Header=BB1_10 Depth=3
	s_or_b64 exec, exec, s[28:29]
	v_add_u32_e32 v7, s84, v41
	v_sub_u32_e32 v8, 0, v7
	v_max_i32_e32 v8, v7, v8
	v_mul_hi_u32 v43, v8, v11
	v_ashrrev_i32_e32 v7, 31, v7
	v_mov_b32_e32 v45, s13
	v_mul_lo_u32 v43, v43, s69
	v_sub_u32_e32 v8, v8, v43
	v_subrev_u32_e32 v43, s69, v8
	v_cmp_le_u32_e64 s[2:3], s69, v8
	v_cndmask_b32_e64 v8, v8, v43, s[2:3]
	v_subrev_u32_e32 v43, s69, v8
	v_cmp_le_u32_e64 s[2:3], s69, v8
	v_cndmask_b32_e64 v8, v8, v43, s[2:3]
	v_xor_b32_e32 v8, v8, v7
	v_sub_u32_e32 v7, v8, v7
	v_add_u32_e32 v43, v24, v7
	v_ashrrev_i32_e32 v44, 31, v43
	v_add_co_u32_e64 v7, s[2:3], s12, v43
	v_addc_co_u32_e64 v8, s[2:3], v45, v44, s[2:3]
	global_load_ubyte v45, v[7:8], off
	s_waitcnt vmcnt(0)
	v_cmp_eq_u16_e64 s[2:3], 10, v45
	s_and_saveexec_b64 s[28:29], s[2:3]
	s_cbranch_execz .LBB1_19
; %bb.18:                               ;   in Loop: Header=BB1_10 Depth=3
	v_mov_b32_e32 v42, 2
	v_mov_b32_e32 v45, s15
	v_add_co_u32_e64 v43, s[2:3], s14, v43
	v_addc_co_u32_e64 v44, s[2:3], v45, v44, s[2:3]
	global_load_ushort v46, v[3:4], off
	s_nop 0
	global_load_ubyte v43, v[43:44], off
	s_nop 0
	global_store_byte v[1:2], v42, off
	global_load_ubyte v45, v[7:8], off
	s_waitcnt vmcnt(3)
	v_or_b32_e32 v7, 0x800, v46
	s_waitcnt vmcnt(2)
	global_store_byte v[5:6], v43, off
	global_store_short v[3:4], v7, off
.LBB1_19:                               ;   in Loop: Header=BB1_10 Depth=3
	s_or_b64 exec, exec, s[28:29]
	s_waitcnt vmcnt(2)
	v_cmp_eq_u16_sdwa s[2:3], v45, v19 src0_sel:BYTE_0 src1_sel:DWORD
	s_and_saveexec_b64 s[28:29], s[2:3]
	s_cbranch_execz .LBB1_23
; %bb.20:                               ;   in Loop: Header=BB1_10 Depth=3
	v_mov_b32_e32 v7, 2
	v_cmp_ne_u16_e64 s[2:3], 2, v42
	s_and_saveexec_b64 s[30:31], s[2:3]
	s_cbranch_execz .LBB1_22
; %bb.21:                               ;   in Loop: Header=BB1_10 Depth=3
	v_mov_b32_e32 v7, 3
	global_store_byte v[1:2], v7, off
.LBB1_22:                               ;   in Loop: Header=BB1_10 Depth=3
	s_or_b64 exec, exec, s[30:31]
	global_load_ushort v8, v[3:4], off
	v_mov_b32_e32 v42, v7
	s_waitcnt vmcnt(0)
	v_or_b32_e32 v8, 0x800, v8
	global_store_short v[3:4], v8, off
.LBB1_23:                               ;   in Loop: Header=BB1_10 Depth=3
	s_or_b64 exec, exec, s[28:29]
	v_add_u32_e32 v7, s83, v41
	v_sub_u32_e32 v8, 0, v7
	v_max_i32_e32 v8, v7, v8
	v_mul_hi_u32 v43, v8, v11
	v_ashrrev_i32_e32 v7, 31, v7
	v_mov_b32_e32 v45, s13
	v_mul_lo_u32 v43, v43, s69
	v_sub_u32_e32 v8, v8, v43
	v_subrev_u32_e32 v43, s69, v8
	v_cmp_le_u32_e64 s[2:3], s69, v8
	v_cndmask_b32_e64 v8, v8, v43, s[2:3]
	v_subrev_u32_e32 v43, s69, v8
	v_cmp_le_u32_e64 s[2:3], s69, v8
	v_cndmask_b32_e64 v8, v8, v43, s[2:3]
	v_xor_b32_e32 v8, v8, v7
	v_sub_u32_e32 v7, v8, v7
	v_add_u32_e32 v43, v25, v7
	v_ashrrev_i32_e32 v44, 31, v43
	v_add_co_u32_e64 v7, s[2:3], s12, v43
	v_addc_co_u32_e64 v8, s[2:3], v45, v44, s[2:3]
	global_load_ubyte v45, v[7:8], off
	;; [unrolled: 64-line block ×6, first 2 shown]
	s_waitcnt vmcnt(0)
	v_cmp_eq_u16_e64 s[2:3], 10, v45
	s_and_saveexec_b64 s[28:29], s[2:3]
	s_cbranch_execz .LBB1_49
; %bb.48:                               ;   in Loop: Header=BB1_10 Depth=3
	v_mov_b32_e32 v42, 2
	v_mov_b32_e32 v45, s15
	v_add_co_u32_e64 v43, s[2:3], s14, v43
	v_addc_co_u32_e64 v44, s[2:3], v45, v44, s[2:3]
	global_load_ushort v46, v[3:4], off offset:1
	s_nop 0
	global_load_ubyte v43, v[43:44], off
	s_nop 0
	global_store_byte v[1:2], v42, off
	global_load_ubyte v45, v[7:8], off
	s_waitcnt vmcnt(3)
	v_or_b32_e32 v7, 0x100, v46
	s_waitcnt vmcnt(2)
	global_store_byte v[5:6], v43, off
	global_store_short v[3:4], v7, off offset:1
.LBB1_49:                               ;   in Loop: Header=BB1_10 Depth=3
	s_or_b64 exec, exec, s[28:29]
	s_waitcnt vmcnt(2)
	v_cmp_eq_u16_sdwa s[2:3], v45, v19 src0_sel:BYTE_0 src1_sel:DWORD
	s_and_saveexec_b64 s[28:29], s[2:3]
	s_cbranch_execz .LBB1_53
; %bb.50:                               ;   in Loop: Header=BB1_10 Depth=3
	v_mov_b32_e32 v7, 2
	v_cmp_ne_u16_e64 s[2:3], 2, v42
	s_and_saveexec_b64 s[30:31], s[2:3]
	s_cbranch_execz .LBB1_52
; %bb.51:                               ;   in Loop: Header=BB1_10 Depth=3
	v_mov_b32_e32 v7, 3
	global_store_byte v[1:2], v7, off
.LBB1_52:                               ;   in Loop: Header=BB1_10 Depth=3
	s_or_b64 exec, exec, s[30:31]
	global_load_ushort v8, v[3:4], off offset:1
	v_mov_b32_e32 v42, v7
	s_waitcnt vmcnt(0)
	v_or_b32_e32 v8, 0x100, v8
	global_store_short v[3:4], v8, off offset:1
.LBB1_53:                               ;   in Loop: Header=BB1_10 Depth=3
	s_or_b64 exec, exec, s[28:29]
	v_add_u32_e32 v7, s78, v41
	v_sub_u32_e32 v8, 0, v7
	v_max_i32_e32 v8, v7, v8
	v_mul_hi_u32 v43, v8, v11
	v_ashrrev_i32_e32 v7, 31, v7
	v_mov_b32_e32 v45, s13
	v_mul_lo_u32 v43, v43, s69
	v_sub_u32_e32 v8, v8, v43
	v_subrev_u32_e32 v43, s69, v8
	v_cmp_le_u32_e64 s[2:3], s69, v8
	v_cndmask_b32_e64 v8, v8, v43, s[2:3]
	v_subrev_u32_e32 v43, s69, v8
	v_cmp_le_u32_e64 s[2:3], s69, v8
	v_cndmask_b32_e64 v8, v8, v43, s[2:3]
	v_xor_b32_e32 v8, v8, v7
	v_sub_u32_e32 v7, v8, v7
	v_add_u32_e32 v43, v30, v7
	v_ashrrev_i32_e32 v44, 31, v43
	v_add_co_u32_e64 v7, s[2:3], s12, v43
	v_addc_co_u32_e64 v8, s[2:3], v45, v44, s[2:3]
	global_load_ubyte v45, v[7:8], off
	s_waitcnt vmcnt(0)
	v_cmp_eq_u16_e64 s[2:3], 10, v45
	s_and_saveexec_b64 s[28:29], s[2:3]
	s_cbranch_execz .LBB1_55
; %bb.54:                               ;   in Loop: Header=BB1_10 Depth=3
	v_mov_b32_e32 v42, 2
	v_mov_b32_e32 v45, s15
	v_add_co_u32_e64 v43, s[2:3], s14, v43
	v_addc_co_u32_e64 v44, s[2:3], v45, v44, s[2:3]
	global_load_ushort v46, v[3:4], off offset:1
	s_nop 0
	global_load_ubyte v43, v[43:44], off
	s_nop 0
	global_store_byte v[1:2], v42, off
	global_load_ubyte v45, v[7:8], off
	s_waitcnt vmcnt(3)
	v_or_b32_e32 v7, 0x200, v46
	s_waitcnt vmcnt(2)
	global_store_byte v[5:6], v43, off
	global_store_short v[3:4], v7, off offset:1
.LBB1_55:                               ;   in Loop: Header=BB1_10 Depth=3
	s_or_b64 exec, exec, s[28:29]
	s_waitcnt vmcnt(2)
	v_cmp_eq_u16_sdwa s[2:3], v45, v19 src0_sel:BYTE_0 src1_sel:DWORD
	s_and_saveexec_b64 s[28:29], s[2:3]
	s_cbranch_execz .LBB1_59
; %bb.56:                               ;   in Loop: Header=BB1_10 Depth=3
	v_mov_b32_e32 v7, 2
	v_cmp_ne_u16_e64 s[2:3], 2, v42
	s_and_saveexec_b64 s[30:31], s[2:3]
	s_cbranch_execz .LBB1_58
; %bb.57:                               ;   in Loop: Header=BB1_10 Depth=3
	v_mov_b32_e32 v7, 3
	global_store_byte v[1:2], v7, off
.LBB1_58:                               ;   in Loop: Header=BB1_10 Depth=3
	s_or_b64 exec, exec, s[30:31]
	global_load_ushort v8, v[3:4], off offset:1
	v_mov_b32_e32 v42, v7
	s_waitcnt vmcnt(0)
	v_or_b32_e32 v8, 0x200, v8
	global_store_short v[3:4], v8, off offset:1
.LBB1_59:                               ;   in Loop: Header=BB1_10 Depth=3
	s_or_b64 exec, exec, s[28:29]
	v_add_u32_e32 v7, v17, v41
	v_sub_u32_e32 v8, 0, v7
	v_max_i32_e32 v8, v7, v8
	v_mul_hi_u32 v43, v8, v11
	v_ashrrev_i32_e32 v7, 31, v7
	v_mov_b32_e32 v45, s13
	v_mul_lo_u32 v43, v43, s69
	v_sub_u32_e32 v8, v8, v43
	v_subrev_u32_e32 v43, s69, v8
	v_cmp_le_u32_e64 s[2:3], s69, v8
	v_cndmask_b32_e64 v8, v8, v43, s[2:3]
	v_subrev_u32_e32 v43, s69, v8
	v_cmp_le_u32_e64 s[2:3], s69, v8
	v_cndmask_b32_e64 v8, v8, v43, s[2:3]
	v_xor_b32_e32 v8, v8, v7
	v_sub_u32_e32 v7, v8, v7
	v_add_u32_e32 v43, v31, v7
	v_ashrrev_i32_e32 v44, 31, v43
	v_add_co_u32_e64 v7, s[2:3], s12, v43
	v_addc_co_u32_e64 v8, s[2:3], v45, v44, s[2:3]
	global_load_ubyte v45, v[7:8], off
	;; [unrolled: 64-line block ×3, first 2 shown]
	s_waitcnt vmcnt(0)
	v_cmp_eq_u16_e64 s[2:3], 10, v45
	s_and_saveexec_b64 s[28:29], s[2:3]
	s_cbranch_execz .LBB1_67
; %bb.66:                               ;   in Loop: Header=BB1_10 Depth=3
	v_mov_b32_e32 v42, 2
	v_mov_b32_e32 v45, s15
	v_add_co_u32_e64 v43, s[2:3], s14, v43
	v_addc_co_u32_e64 v44, s[2:3], v45, v44, s[2:3]
	global_load_ushort v46, v[3:4], off
	s_nop 0
	global_load_ubyte v43, v[43:44], off
	s_nop 0
	global_store_byte v[1:2], v42, off
	global_load_ubyte v45, v[7:8], off
	s_waitcnt vmcnt(3)
	v_or_b32_e32 v7, 2, v46
	s_waitcnt vmcnt(2)
	global_store_byte v[5:6], v43, off
	global_store_short v[3:4], v7, off
.LBB1_67:                               ;   in Loop: Header=BB1_10 Depth=3
	s_or_b64 exec, exec, s[28:29]
	s_waitcnt vmcnt(2)
	v_cmp_eq_u16_sdwa s[2:3], v45, v19 src0_sel:BYTE_0 src1_sel:DWORD
	s_and_saveexec_b64 s[28:29], s[2:3]
	s_cbranch_execz .LBB1_71
; %bb.68:                               ;   in Loop: Header=BB1_10 Depth=3
	v_mov_b32_e32 v7, 2
	v_cmp_ne_u16_e64 s[2:3], 2, v42
	s_and_saveexec_b64 s[30:31], s[2:3]
	s_cbranch_execz .LBB1_70
; %bb.69:                               ;   in Loop: Header=BB1_10 Depth=3
	v_mov_b32_e32 v7, 3
	global_store_byte v[1:2], v7, off
.LBB1_70:                               ;   in Loop: Header=BB1_10 Depth=3
	s_or_b64 exec, exec, s[30:31]
	global_load_ushort v8, v[3:4], off
	v_mov_b32_e32 v42, v7
	s_waitcnt vmcnt(0)
	v_or_b32_e32 v8, 2, v8
	global_store_short v[3:4], v8, off
.LBB1_71:                               ;   in Loop: Header=BB1_10 Depth=3
	s_or_b64 exec, exec, s[28:29]
	v_add_u32_e32 v7, v15, v41
	v_sub_u32_e32 v8, 0, v7
	v_max_i32_e32 v8, v7, v8
	v_mul_hi_u32 v43, v8, v11
	v_ashrrev_i32_e32 v7, 31, v7
	v_mov_b32_e32 v45, s13
	v_mul_lo_u32 v43, v43, s69
	v_sub_u32_e32 v8, v8, v43
	v_subrev_u32_e32 v43, s69, v8
	v_cmp_le_u32_e64 s[2:3], s69, v8
	v_cndmask_b32_e64 v8, v8, v43, s[2:3]
	v_subrev_u32_e32 v43, s69, v8
	v_cmp_le_u32_e64 s[2:3], s69, v8
	v_cndmask_b32_e64 v8, v8, v43, s[2:3]
	v_xor_b32_e32 v8, v8, v7
	v_sub_u32_e32 v7, v8, v7
	v_add_u32_e32 v43, v33, v7
	v_ashrrev_i32_e32 v44, 31, v43
	v_add_co_u32_e64 v7, s[2:3], s12, v43
	v_addc_co_u32_e64 v8, s[2:3], v45, v44, s[2:3]
	global_load_ubyte v45, v[7:8], off
	s_waitcnt vmcnt(0)
	v_cmp_eq_u16_e64 s[2:3], 10, v45
	s_and_saveexec_b64 s[28:29], s[2:3]
	s_cbranch_execz .LBB1_73
; %bb.72:                               ;   in Loop: Header=BB1_10 Depth=3
	v_mov_b32_e32 v42, 2
	v_mov_b32_e32 v45, s15
	v_add_co_u32_e64 v43, s[2:3], s14, v43
	v_addc_co_u32_e64 v44, s[2:3], v45, v44, s[2:3]
	global_load_ushort v46, v[3:4], off
	s_nop 0
	global_load_ubyte v43, v[43:44], off
	s_nop 0
	global_store_byte v[1:2], v42, off
	global_load_ubyte v45, v[7:8], off
	s_waitcnt vmcnt(3)
	v_or_b32_e32 v7, 4, v46
	s_waitcnt vmcnt(2)
	global_store_byte v[5:6], v43, off
	global_store_short v[3:4], v7, off
.LBB1_73:                               ;   in Loop: Header=BB1_10 Depth=3
	s_or_b64 exec, exec, s[28:29]
	s_waitcnt vmcnt(2)
	v_cmp_eq_u16_sdwa s[2:3], v45, v19 src0_sel:BYTE_0 src1_sel:DWORD
	s_and_saveexec_b64 s[28:29], s[2:3]
	s_cbranch_execz .LBB1_77
; %bb.74:                               ;   in Loop: Header=BB1_10 Depth=3
	v_mov_b32_e32 v7, 2
	v_cmp_ne_u16_e64 s[2:3], 2, v42
	s_and_saveexec_b64 s[30:31], s[2:3]
	s_cbranch_execz .LBB1_76
; %bb.75:                               ;   in Loop: Header=BB1_10 Depth=3
	v_mov_b32_e32 v7, 3
	global_store_byte v[1:2], v7, off
.LBB1_76:                               ;   in Loop: Header=BB1_10 Depth=3
	s_or_b64 exec, exec, s[30:31]
	global_load_ushort v8, v[3:4], off
	v_mov_b32_e32 v42, v7
	s_waitcnt vmcnt(0)
	v_or_b32_e32 v8, 4, v8
	global_store_short v[3:4], v8, off
.LBB1_77:                               ;   in Loop: Header=BB1_10 Depth=3
	s_or_b64 exec, exec, s[28:29]
	v_add_u32_e32 v7, s77, v41
	v_sub_u32_e32 v8, 0, v7
	v_max_i32_e32 v8, v7, v8
	v_mul_hi_u32 v43, v8, v11
	v_ashrrev_i32_e32 v7, 31, v7
	v_mov_b32_e32 v45, s13
	v_mul_lo_u32 v43, v43, s69
	v_sub_u32_e32 v8, v8, v43
	v_subrev_u32_e32 v43, s69, v8
	v_cmp_le_u32_e64 s[2:3], s69, v8
	v_cndmask_b32_e64 v8, v8, v43, s[2:3]
	v_subrev_u32_e32 v43, s69, v8
	v_cmp_le_u32_e64 s[2:3], s69, v8
	v_cndmask_b32_e64 v8, v8, v43, s[2:3]
	v_xor_b32_e32 v8, v8, v7
	v_sub_u32_e32 v7, v8, v7
	v_add_u32_e32 v43, v34, v7
	v_ashrrev_i32_e32 v44, 31, v43
	v_add_co_u32_e64 v7, s[2:3], s12, v43
	v_addc_co_u32_e64 v8, s[2:3], v45, v44, s[2:3]
	global_load_ubyte v45, v[7:8], off
	s_waitcnt vmcnt(0)
	v_cmp_eq_u16_e64 s[2:3], 10, v45
	s_and_saveexec_b64 s[28:29], s[2:3]
	s_cbranch_execz .LBB1_79
; %bb.78:                               ;   in Loop: Header=BB1_10 Depth=3
	v_mov_b32_e32 v42, 2
	v_mov_b32_e32 v45, s15
	v_add_co_u32_e64 v43, s[2:3], s14, v43
	v_addc_co_u32_e64 v44, s[2:3], v45, v44, s[2:3]
	global_load_ushort v46, v[3:4], off
	s_nop 0
	global_load_ubyte v43, v[43:44], off
	s_nop 0
	global_store_byte v[1:2], v42, off
	global_load_ubyte v45, v[7:8], off
	s_waitcnt vmcnt(3)
	v_or_b32_e32 v7, 8, v46
	s_waitcnt vmcnt(2)
	global_store_byte v[5:6], v43, off
	global_store_short v[3:4], v7, off
.LBB1_79:                               ;   in Loop: Header=BB1_10 Depth=3
	s_or_b64 exec, exec, s[28:29]
	s_waitcnt vmcnt(2)
	v_cmp_eq_u16_sdwa s[2:3], v45, v19 src0_sel:BYTE_0 src1_sel:DWORD
	s_and_saveexec_b64 s[28:29], s[2:3]
	s_cbranch_execz .LBB1_83
; %bb.80:                               ;   in Loop: Header=BB1_10 Depth=3
	v_mov_b32_e32 v7, 2
	v_cmp_ne_u16_e64 s[2:3], 2, v42
	s_and_saveexec_b64 s[30:31], s[2:3]
	s_cbranch_execz .LBB1_82
; %bb.81:                               ;   in Loop: Header=BB1_10 Depth=3
	v_mov_b32_e32 v7, 3
	global_store_byte v[1:2], v7, off
.LBB1_82:                               ;   in Loop: Header=BB1_10 Depth=3
	s_or_b64 exec, exec, s[30:31]
	global_load_ushort v8, v[3:4], off
	v_mov_b32_e32 v42, v7
	s_waitcnt vmcnt(0)
	v_or_b32_e32 v8, 8, v8
	global_store_short v[3:4], v8, off
.LBB1_83:                               ;   in Loop: Header=BB1_10 Depth=3
	s_or_b64 exec, exec, s[28:29]
	v_add_u32_e32 v7, s76, v41
	v_sub_u32_e32 v8, 0, v7
	v_max_i32_e32 v8, v7, v8
	v_mul_hi_u32 v43, v8, v11
	v_ashrrev_i32_e32 v7, 31, v7
	v_mov_b32_e32 v45, s13
	v_mul_lo_u32 v43, v43, s69
	v_sub_u32_e32 v8, v8, v43
	v_subrev_u32_e32 v43, s69, v8
	v_cmp_le_u32_e64 s[2:3], s69, v8
	v_cndmask_b32_e64 v8, v8, v43, s[2:3]
	v_subrev_u32_e32 v43, s69, v8
	v_cmp_le_u32_e64 s[2:3], s69, v8
	v_cndmask_b32_e64 v8, v8, v43, s[2:3]
	v_xor_b32_e32 v8, v8, v7
	v_sub_u32_e32 v7, v8, v7
	v_add_u32_e32 v43, v35, v7
	v_ashrrev_i32_e32 v44, 31, v43
	v_add_co_u32_e64 v7, s[2:3], s12, v43
	v_addc_co_u32_e64 v8, s[2:3], v45, v44, s[2:3]
	global_load_ubyte v45, v[7:8], off
	s_waitcnt vmcnt(0)
	v_cmp_eq_u16_e64 s[2:3], 10, v45
	s_and_saveexec_b64 s[28:29], s[2:3]
	s_cbranch_execz .LBB1_85
; %bb.84:                               ;   in Loop: Header=BB1_10 Depth=3
	v_mov_b32_e32 v42, 2
	v_mov_b32_e32 v45, s15
	v_add_co_u32_e64 v43, s[2:3], s14, v43
	v_addc_co_u32_e64 v44, s[2:3], v45, v44, s[2:3]
	global_load_ushort v46, v[3:4], off
	s_nop 0
	global_load_ubyte v43, v[43:44], off
	s_nop 0
	global_store_byte v[1:2], v42, off
	global_load_ubyte v45, v[7:8], off
	s_waitcnt vmcnt(3)
	v_or_b32_e32 v7, 16, v46
	s_waitcnt vmcnt(2)
	global_store_byte v[5:6], v43, off
	global_store_short v[3:4], v7, off
.LBB1_85:                               ;   in Loop: Header=BB1_10 Depth=3
	s_or_b64 exec, exec, s[28:29]
	s_waitcnt vmcnt(2)
	v_cmp_eq_u16_sdwa s[2:3], v45, v19 src0_sel:BYTE_0 src1_sel:DWORD
	s_and_saveexec_b64 s[28:29], s[2:3]
	s_cbranch_execz .LBB1_89
; %bb.86:                               ;   in Loop: Header=BB1_10 Depth=3
	v_mov_b32_e32 v7, 2
	v_cmp_ne_u16_e64 s[2:3], 2, v42
	s_and_saveexec_b64 s[30:31], s[2:3]
	s_cbranch_execz .LBB1_88
; %bb.87:                               ;   in Loop: Header=BB1_10 Depth=3
	v_mov_b32_e32 v7, 3
	global_store_byte v[1:2], v7, off
.LBB1_88:                               ;   in Loop: Header=BB1_10 Depth=3
	s_or_b64 exec, exec, s[30:31]
	global_load_ushort v8, v[3:4], off
	v_mov_b32_e32 v42, v7
	s_waitcnt vmcnt(0)
	v_or_b32_e32 v8, 16, v8
	global_store_short v[3:4], v8, off
.LBB1_89:                               ;   in Loop: Header=BB1_10 Depth=3
	s_or_b64 exec, exec, s[28:29]
	v_add_u32_e32 v7, v14, v41
	v_sub_u32_e32 v8, 0, v7
	v_max_i32_e32 v8, v7, v8
	v_mul_hi_u32 v43, v8, v11
	v_ashrrev_i32_e32 v7, 31, v7
	v_mov_b32_e32 v45, s13
	v_mul_lo_u32 v43, v43, s69
	v_sub_u32_e32 v8, v8, v43
	v_subrev_u32_e32 v43, s69, v8
	v_cmp_le_u32_e64 s[2:3], s69, v8
	v_cndmask_b32_e64 v8, v8, v43, s[2:3]
	v_subrev_u32_e32 v43, s69, v8
	v_cmp_le_u32_e64 s[2:3], s69, v8
	v_cndmask_b32_e64 v8, v8, v43, s[2:3]
	v_xor_b32_e32 v8, v8, v7
	v_sub_u32_e32 v7, v8, v7
	v_add_u32_e32 v43, v36, v7
	v_ashrrev_i32_e32 v44, 31, v43
	v_add_co_u32_e64 v7, s[2:3], s12, v43
	v_addc_co_u32_e64 v8, s[2:3], v45, v44, s[2:3]
	global_load_ubyte v45, v[7:8], off
	s_waitcnt vmcnt(0)
	v_cmp_eq_u16_e64 s[2:3], 10, v45
	s_and_saveexec_b64 s[28:29], s[2:3]
	s_cbranch_execz .LBB1_91
; %bb.90:                               ;   in Loop: Header=BB1_10 Depth=3
	v_mov_b32_e32 v42, 2
	v_mov_b32_e32 v45, s15
	v_add_co_u32_e64 v43, s[2:3], s14, v43
	v_addc_co_u32_e64 v44, s[2:3], v45, v44, s[2:3]
	global_load_ushort v46, v[3:4], off
	s_nop 0
	global_load_ubyte v43, v[43:44], off
	s_nop 0
	global_store_byte v[1:2], v42, off
	global_load_ubyte v45, v[7:8], off
	s_waitcnt vmcnt(3)
	v_or_b32_e32 v7, 32, v46
	s_waitcnt vmcnt(2)
	global_store_byte v[5:6], v43, off
	global_store_short v[3:4], v7, off
.LBB1_91:                               ;   in Loop: Header=BB1_10 Depth=3
	s_or_b64 exec, exec, s[28:29]
	s_waitcnt vmcnt(2)
	v_cmp_eq_u16_sdwa s[2:3], v45, v19 src0_sel:BYTE_0 src1_sel:DWORD
	s_and_saveexec_b64 s[28:29], s[2:3]
	s_cbranch_execz .LBB1_95
; %bb.92:                               ;   in Loop: Header=BB1_10 Depth=3
	v_mov_b32_e32 v7, 2
	v_cmp_ne_u16_e64 s[2:3], 2, v42
	s_and_saveexec_b64 s[30:31], s[2:3]
	s_cbranch_execz .LBB1_94
; %bb.93:                               ;   in Loop: Header=BB1_10 Depth=3
	v_mov_b32_e32 v7, 3
	global_store_byte v[1:2], v7, off
.LBB1_94:                               ;   in Loop: Header=BB1_10 Depth=3
	s_or_b64 exec, exec, s[30:31]
	global_load_ushort v8, v[3:4], off
	v_mov_b32_e32 v42, v7
	s_waitcnt vmcnt(0)
	v_or_b32_e32 v8, 32, v8
	global_store_short v[3:4], v8, off
.LBB1_95:                               ;   in Loop: Header=BB1_10 Depth=3
	s_or_b64 exec, exec, s[28:29]
	v_add_u32_e32 v7, v13, v41
	v_sub_u32_e32 v8, 0, v7
	v_max_i32_e32 v8, v7, v8
	v_mul_hi_u32 v43, v8, v11
	v_ashrrev_i32_e32 v7, 31, v7
	v_mov_b32_e32 v45, s13
	v_mul_lo_u32 v43, v43, s69
	v_sub_u32_e32 v8, v8, v43
	v_subrev_u32_e32 v43, s69, v8
	v_cmp_le_u32_e64 s[2:3], s69, v8
	v_cndmask_b32_e64 v8, v8, v43, s[2:3]
	v_subrev_u32_e32 v43, s69, v8
	v_cmp_le_u32_e64 s[2:3], s69, v8
	v_cndmask_b32_e64 v8, v8, v43, s[2:3]
	v_xor_b32_e32 v8, v8, v7
	v_sub_u32_e32 v7, v8, v7
	v_add_u32_e32 v43, v37, v7
	v_ashrrev_i32_e32 v44, 31, v43
	v_add_co_u32_e64 v7, s[2:3], s12, v43
	v_addc_co_u32_e64 v8, s[2:3], v45, v44, s[2:3]
	global_load_ubyte v45, v[7:8], off
	s_waitcnt vmcnt(0)
	v_cmp_eq_u16_e64 s[2:3], 10, v45
	s_and_saveexec_b64 s[28:29], s[2:3]
	s_cbranch_execz .LBB1_97
; %bb.96:                               ;   in Loop: Header=BB1_10 Depth=3
	v_mov_b32_e32 v42, 2
	v_mov_b32_e32 v45, s15
	v_add_co_u32_e64 v43, s[2:3], s14, v43
	v_addc_co_u32_e64 v44, s[2:3], v45, v44, s[2:3]
	global_load_ushort v46, v[3:4], off
	s_nop 0
	global_load_ubyte v43, v[43:44], off
	s_nop 0
	global_store_byte v[1:2], v42, off
	global_load_ubyte v45, v[7:8], off
	s_waitcnt vmcnt(3)
	v_or_b32_e32 v7, 64, v46
	s_waitcnt vmcnt(2)
	global_store_byte v[5:6], v43, off
	global_store_short v[3:4], v7, off
.LBB1_97:                               ;   in Loop: Header=BB1_10 Depth=3
	s_or_b64 exec, exec, s[28:29]
	s_waitcnt vmcnt(2)
	v_cmp_eq_u16_sdwa s[2:3], v45, v19 src0_sel:BYTE_0 src1_sel:DWORD
	s_and_saveexec_b64 s[28:29], s[2:3]
	s_cbranch_execz .LBB1_101
; %bb.98:                               ;   in Loop: Header=BB1_10 Depth=3
	v_mov_b32_e32 v7, 2
	v_cmp_ne_u16_e64 s[2:3], 2, v42
	s_and_saveexec_b64 s[30:31], s[2:3]
	s_cbranch_execz .LBB1_100
; %bb.99:                               ;   in Loop: Header=BB1_10 Depth=3
	v_mov_b32_e32 v7, 3
	global_store_byte v[1:2], v7, off
.LBB1_100:                              ;   in Loop: Header=BB1_10 Depth=3
	s_or_b64 exec, exec, s[30:31]
	global_load_ushort v8, v[3:4], off
	v_mov_b32_e32 v42, v7
	s_waitcnt vmcnt(0)
	v_or_b32_e32 v8, 64, v8
	global_store_short v[3:4], v8, off
.LBB1_101:                              ;   in Loop: Header=BB1_10 Depth=3
	s_or_b64 exec, exec, s[28:29]
	v_add_u32_e32 v7, v12, v41
	v_sub_u32_e32 v8, 0, v7
	v_max_i32_e32 v8, v7, v8
	v_mul_hi_u32 v43, v8, v11
	v_ashrrev_i32_e32 v7, 31, v7
	v_mov_b32_e32 v45, s13
	v_mul_lo_u32 v43, v43, s69
	v_sub_u32_e32 v8, v8, v43
	v_subrev_u32_e32 v43, s69, v8
	v_cmp_le_u32_e64 s[2:3], s69, v8
	v_cndmask_b32_e64 v8, v8, v43, s[2:3]
	v_subrev_u32_e32 v43, s69, v8
	v_cmp_le_u32_e64 s[2:3], s69, v8
	v_cndmask_b32_e64 v8, v8, v43, s[2:3]
	v_xor_b32_e32 v8, v8, v7
	v_sub_u32_e32 v7, v8, v7
	v_add_u32_e32 v43, v38, v7
	v_ashrrev_i32_e32 v44, 31, v43
	v_add_co_u32_e64 v7, s[2:3], s12, v43
	v_addc_co_u32_e64 v8, s[2:3], v45, v44, s[2:3]
	global_load_ubyte v45, v[7:8], off
	s_waitcnt vmcnt(0)
	v_cmp_eq_u16_e64 s[2:3], 10, v45
	s_and_saveexec_b64 s[28:29], s[2:3]
	s_cbranch_execz .LBB1_103
; %bb.102:                              ;   in Loop: Header=BB1_10 Depth=3
	v_mov_b32_e32 v42, 2
	v_mov_b32_e32 v45, s15
	v_add_co_u32_e64 v43, s[2:3], s14, v43
	v_addc_co_u32_e64 v44, s[2:3], v45, v44, s[2:3]
	global_load_ushort v46, v[3:4], off
	s_nop 0
	global_load_ubyte v43, v[43:44], off
	s_nop 0
	global_store_byte v[1:2], v42, off
	global_load_ubyte v45, v[7:8], off
	s_waitcnt vmcnt(3)
	v_or_b32_e32 v7, 0x80, v46
	s_waitcnt vmcnt(2)
	global_store_byte v[5:6], v43, off
	global_store_short v[3:4], v7, off
.LBB1_103:                              ;   in Loop: Header=BB1_10 Depth=3
	s_or_b64 exec, exec, s[28:29]
	s_waitcnt vmcnt(2)
	v_cmp_eq_u16_sdwa s[2:3], v45, v19 src0_sel:BYTE_0 src1_sel:DWORD
	s_and_saveexec_b64 s[28:29], s[2:3]
	s_cbranch_execz .LBB1_107
; %bb.104:                              ;   in Loop: Header=BB1_10 Depth=3
	v_mov_b32_e32 v7, 2
	v_cmp_ne_u16_e64 s[2:3], 2, v42
	s_and_saveexec_b64 s[30:31], s[2:3]
	s_cbranch_execz .LBB1_106
; %bb.105:                              ;   in Loop: Header=BB1_10 Depth=3
	v_mov_b32_e32 v7, 3
	global_store_byte v[1:2], v7, off
.LBB1_106:                              ;   in Loop: Header=BB1_10 Depth=3
	s_or_b64 exec, exec, s[30:31]
	global_load_ushort v8, v[3:4], off
	v_mov_b32_e32 v42, v7
	s_waitcnt vmcnt(0)
	v_or_b32_e32 v8, 0x80, v8
	global_store_short v[3:4], v8, off
.LBB1_107:                              ;   in Loop: Header=BB1_10 Depth=3
	s_or_b64 exec, exec, s[28:29]
	v_add_u32_e32 v7, s75, v41
	v_sub_u32_e32 v8, 0, v7
	v_max_i32_e32 v8, v7, v8
	v_mul_hi_u32 v43, v8, v11
	v_ashrrev_i32_e32 v7, 31, v7
	v_mov_b32_e32 v45, s13
	v_mul_lo_u32 v43, v43, s69
	v_sub_u32_e32 v8, v8, v43
	v_subrev_u32_e32 v43, s69, v8
	v_cmp_le_u32_e64 s[2:3], s69, v8
	v_cndmask_b32_e64 v8, v8, v43, s[2:3]
	v_subrev_u32_e32 v43, s69, v8
	v_cmp_le_u32_e64 s[2:3], s69, v8
	v_cndmask_b32_e64 v8, v8, v43, s[2:3]
	v_xor_b32_e32 v8, v8, v7
	v_sub_u32_e32 v7, v8, v7
	v_add_u32_e32 v43, v39, v7
	v_ashrrev_i32_e32 v44, 31, v43
	v_add_co_u32_e64 v7, s[2:3], s12, v43
	v_addc_co_u32_e64 v8, s[2:3], v45, v44, s[2:3]
	global_load_ubyte v45, v[7:8], off
	s_waitcnt vmcnt(0)
	v_cmp_eq_u16_e64 s[2:3], 10, v45
	s_and_saveexec_b64 s[28:29], s[2:3]
	s_cbranch_execz .LBB1_109
; %bb.108:                              ;   in Loop: Header=BB1_10 Depth=3
	v_mov_b32_e32 v42, 2
	v_mov_b32_e32 v45, s15
	v_add_co_u32_e64 v43, s[2:3], s14, v43
	v_addc_co_u32_e64 v44, s[2:3], v45, v44, s[2:3]
	global_load_ushort v46, v[3:4], off
	s_nop 0
	global_load_ubyte v43, v[43:44], off
	s_nop 0
	global_store_byte v[1:2], v42, off
	global_load_ubyte v45, v[7:8], off
	s_waitcnt vmcnt(3)
	v_or_b32_e32 v7, 0x100, v46
	s_waitcnt vmcnt(2)
	global_store_byte v[5:6], v43, off
	global_store_short v[3:4], v7, off
.LBB1_109:                              ;   in Loop: Header=BB1_10 Depth=3
	s_or_b64 exec, exec, s[28:29]
	s_waitcnt vmcnt(2)
	v_cmp_eq_u16_sdwa s[2:3], v45, v19 src0_sel:BYTE_0 src1_sel:DWORD
	s_and_saveexec_b64 s[28:29], s[2:3]
	s_cbranch_execz .LBB1_113
; %bb.110:                              ;   in Loop: Header=BB1_10 Depth=3
	v_mov_b32_e32 v7, 2
	v_cmp_ne_u16_e64 s[2:3], 2, v42
	s_and_saveexec_b64 s[30:31], s[2:3]
	s_cbranch_execz .LBB1_112
; %bb.111:                              ;   in Loop: Header=BB1_10 Depth=3
	v_mov_b32_e32 v7, 3
	global_store_byte v[1:2], v7, off
.LBB1_112:                              ;   in Loop: Header=BB1_10 Depth=3
	s_or_b64 exec, exec, s[30:31]
	global_load_ushort v8, v[3:4], off
	v_mov_b32_e32 v42, v7
	s_waitcnt vmcnt(0)
	v_or_b32_e32 v8, 0x100, v8
	global_store_short v[3:4], v8, off
.LBB1_113:                              ;   in Loop: Header=BB1_10 Depth=3
	s_or_b64 exec, exec, s[28:29]
	v_add_u32_e32 v7, s74, v41
	v_sub_u32_e32 v8, 0, v7
	v_max_i32_e32 v8, v7, v8
	v_mul_hi_u32 v43, v8, v11
	v_ashrrev_i32_e32 v7, 31, v7
	v_mov_b32_e32 v45, s13
	v_mul_lo_u32 v43, v43, s69
	v_sub_u32_e32 v8, v8, v43
	v_subrev_u32_e32 v43, s69, v8
	v_cmp_le_u32_e64 s[2:3], s69, v8
	v_cndmask_b32_e64 v8, v8, v43, s[2:3]
	v_subrev_u32_e32 v43, s69, v8
	v_cmp_le_u32_e64 s[2:3], s69, v8
	v_cndmask_b32_e64 v8, v8, v43, s[2:3]
	v_xor_b32_e32 v8, v8, v7
	v_sub_u32_e32 v7, v8, v7
	v_add_u32_e32 v43, v40, v7
	v_ashrrev_i32_e32 v44, 31, v43
	v_add_co_u32_e64 v7, s[2:3], s12, v43
	v_addc_co_u32_e64 v8, s[2:3], v45, v44, s[2:3]
	global_load_ubyte v45, v[7:8], off
	s_waitcnt vmcnt(0)
	v_cmp_eq_u16_e64 s[2:3], 10, v45
	s_and_saveexec_b64 s[28:29], s[2:3]
	s_cbranch_execz .LBB1_115
; %bb.114:                              ;   in Loop: Header=BB1_10 Depth=3
	v_mov_b32_e32 v42, 2
	v_mov_b32_e32 v45, s15
	v_add_co_u32_e64 v43, s[2:3], s14, v43
	v_addc_co_u32_e64 v44, s[2:3], v45, v44, s[2:3]
	global_load_ushort v46, v[3:4], off
	s_nop 0
	global_load_ubyte v43, v[43:44], off
	s_nop 0
	global_store_byte v[1:2], v42, off
	global_load_ubyte v45, v[7:8], off
	s_waitcnt vmcnt(3)
	v_or_b32_e32 v7, 0x200, v46
	s_waitcnt vmcnt(2)
	global_store_byte v[5:6], v43, off
	global_store_short v[3:4], v7, off
.LBB1_115:                              ;   in Loop: Header=BB1_10 Depth=3
	s_or_b64 exec, exec, s[28:29]
	s_waitcnt vmcnt(2)
	v_cmp_eq_u16_sdwa s[2:3], v45, v19 src0_sel:BYTE_0 src1_sel:DWORD
	s_and_b64 exec, exec, s[2:3]
	s_cbranch_execz .LBB1_9
; %bb.116:                              ;   in Loop: Header=BB1_10 Depth=3
	v_cmp_ne_u16_e64 s[2:3], 2, v42
	s_and_saveexec_b64 s[28:29], s[2:3]
	s_cbranch_execz .LBB1_8
; %bb.117:                              ;   in Loop: Header=BB1_10 Depth=3
	global_store_byte v[1:2], v18, off
	s_branch .LBB1_8
.LBB1_118:
	s_endpgm
	.section	.rodata,"a",@progbits
	.p2align	6, 0x0
	.amdhsa_kernel _Z9find_wallILi19EEvPcS0_Pi5BoxCUi
		.amdhsa_group_segment_fixed_size 0
		.amdhsa_private_segment_fixed_size 0
		.amdhsa_kernarg_size 312
		.amdhsa_user_sgpr_count 6
		.amdhsa_user_sgpr_private_segment_buffer 1
		.amdhsa_user_sgpr_dispatch_ptr 0
		.amdhsa_user_sgpr_queue_ptr 0
		.amdhsa_user_sgpr_kernarg_segment_ptr 1
		.amdhsa_user_sgpr_dispatch_id 0
		.amdhsa_user_sgpr_flat_scratch_init 0
		.amdhsa_user_sgpr_private_segment_size 0
		.amdhsa_uses_dynamic_stack 0
		.amdhsa_system_sgpr_private_segment_wavefront_offset 0
		.amdhsa_system_sgpr_workgroup_id_x 1
		.amdhsa_system_sgpr_workgroup_id_y 1
		.amdhsa_system_sgpr_workgroup_id_z 1
		.amdhsa_system_sgpr_workgroup_info 0
		.amdhsa_system_vgpr_workitem_id 1
		.amdhsa_next_free_vgpr 48
		.amdhsa_next_free_sgpr 96
		.amdhsa_reserve_vcc 1
		.amdhsa_reserve_flat_scratch 0
		.amdhsa_float_round_mode_32 0
		.amdhsa_float_round_mode_16_64 0
		.amdhsa_float_denorm_mode_32 3
		.amdhsa_float_denorm_mode_16_64 3
		.amdhsa_dx10_clamp 1
		.amdhsa_ieee_mode 1
		.amdhsa_fp16_overflow 0
		.amdhsa_exception_fp_ieee_invalid_op 0
		.amdhsa_exception_fp_denorm_src 0
		.amdhsa_exception_fp_ieee_div_zero 0
		.amdhsa_exception_fp_ieee_overflow 0
		.amdhsa_exception_fp_ieee_underflow 0
		.amdhsa_exception_fp_ieee_inexact 0
		.amdhsa_exception_int_div_zero 0
	.end_amdhsa_kernel
	.section	.text._Z9find_wallILi19EEvPcS0_Pi5BoxCUi,"axG",@progbits,_Z9find_wallILi19EEvPcS0_Pi5BoxCUi,comdat
.Lfunc_end1:
	.size	_Z9find_wallILi19EEvPcS0_Pi5BoxCUi, .Lfunc_end1-_Z9find_wallILi19EEvPcS0_Pi5BoxCUi
                                        ; -- End function
	.set _Z9find_wallILi19EEvPcS0_Pi5BoxCUi.num_vgpr, 48
	.set _Z9find_wallILi19EEvPcS0_Pi5BoxCUi.num_agpr, 0
	.set _Z9find_wallILi19EEvPcS0_Pi5BoxCUi.numbered_sgpr, 96
	.set _Z9find_wallILi19EEvPcS0_Pi5BoxCUi.num_named_barrier, 0
	.set _Z9find_wallILi19EEvPcS0_Pi5BoxCUi.private_seg_size, 0
	.set _Z9find_wallILi19EEvPcS0_Pi5BoxCUi.uses_vcc, 1
	.set _Z9find_wallILi19EEvPcS0_Pi5BoxCUi.uses_flat_scratch, 0
	.set _Z9find_wallILi19EEvPcS0_Pi5BoxCUi.has_dyn_sized_stack, 0
	.set _Z9find_wallILi19EEvPcS0_Pi5BoxCUi.has_recursion, 0
	.set _Z9find_wallILi19EEvPcS0_Pi5BoxCUi.has_indirect_call, 0
	.section	.AMDGPU.csdata,"",@progbits
; Kernel info:
; codeLenInByte = 10328
; TotalNumSgprs: 100
; NumVgprs: 48
; ScratchSize: 0
; MemoryBound: 0
; FloatMode: 240
; IeeeMode: 1
; LDSByteSize: 0 bytes/workgroup (compile time only)
; SGPRBlocks: 12
; VGPRBlocks: 11
; NumSGPRsForWavesPerEU: 100
; NumVGPRsForWavesPerEU: 48
; Occupancy: 5
; WaveLimiterHint : 0
; COMPUTE_PGM_RSRC2:SCRATCH_EN: 0
; COMPUTE_PGM_RSRC2:USER_SGPR: 6
; COMPUTE_PGM_RSRC2:TRAP_HANDLER: 0
; COMPUTE_PGM_RSRC2:TGID_X_EN: 1
; COMPUTE_PGM_RSRC2:TGID_Y_EN: 1
; COMPUTE_PGM_RSRC2:TGID_Z_EN: 1
; COMPUTE_PGM_RSRC2:TIDIG_COMP_CNT: 1
	.section	.text._Z15init_velocity_gIL12lattice_type19EEv8lbm_vars5BoxCUS2_dfffd,"axG",@progbits,_Z15init_velocity_gIL12lattice_type19EEv8lbm_vars5BoxCUS2_dfffd,comdat
	.protected	_Z15init_velocity_gIL12lattice_type19EEv8lbm_vars5BoxCUS2_dfffd ; -- Begin function _Z15init_velocity_gIL12lattice_type19EEv8lbm_vars5BoxCUS2_dfffd
	.globl	_Z15init_velocity_gIL12lattice_type19EEv8lbm_vars5BoxCUS2_dfffd
	.p2align	8
	.type	_Z15init_velocity_gIL12lattice_type19EEv8lbm_vars5BoxCUS2_dfffd,@function
_Z15init_velocity_gIL12lattice_type19EEv8lbm_vars5BoxCUS2_dfffd: ; @_Z15init_velocity_gIL12lattice_type19EEv8lbm_vars5BoxCUS2_dfffd
; %bb.0:
	s_mov_b64 s[78:79], s[2:3]
	s_mov_b64 s[76:77], s[0:1]
	s_add_u32 s76, s76, s9
	s_load_dword s9, s[4:5], 0x8c
	s_addc_u32 s77, s77, 0
	s_add_u32 s0, s4, 0x78
	s_addc_u32 s1, s5, 0
	buffer_store_dword v0, off, s[76:79], 0 offset:28 ; 4-byte Folded Spill
	s_waitcnt lgkmcnt(0)
	s_cmp_ge_i32 s8, s9
	s_cbranch_scc1 .LBB2_9
; %bb.1:
	s_load_dwordx2 s[10:11], s[4:5], 0xc0
	s_load_dwordx2 s[28:29], s[4:5], 0xcc
	s_load_dword s38, s[4:5], 0xd4
	s_mov_b32 s20, 0
	s_mov_b32 s21, 0x40420000
	s_waitcnt lgkmcnt(0)
	v_mov_b32_e32 v2, s10
	v_mov_b32_e32 v3, s11
	v_div_scale_f64 v[2:3], s[2:3], s[20:21], s[20:21], v[2:3]
	s_load_dwordx4 s[12:15], s[4:5], 0xb0
	s_load_dwordx2 s[2:3], s[4:5], 0xa0
	v_mov_b32_e32 v4, 0
	v_mov_b32_e32 v0, 0xc0400000
	;; [unrolled: 1-line block ×3, first 2 shown]
	s_waitcnt lgkmcnt(0)
	v_mul_f32_e32 v14, s12, v0
	v_fma_f32 v10, s12, v0, 1.0
	v_mul_f32_e32 v16, s13, v0
	v_fma_f32 v15, s13, v0, 1.0
	;; [unrolled: 2-line block ×3, first 2 shown]
	v_mov_b32_e32 v19, s13
	v_div_scale_f64 v[4:5], vcc, s[10:11], v[4:5], s[10:11]
	v_mul_f32_e32 v23, v16, v16
	v_rcp_f64_e32 v[6:7], v[2:3]
	v_cvt_f64_f32_e32 v[16:17], v0
	v_sub_f32_e64 v0, -s12, v19
	v_mul_f32_e32 v24, v18, v18
	v_sub_f32_e32 v29, s14, v19
	s_load_dwordx4 s[16:19], s[4:5], 0x90
	s_load_dword s39, s[4:5], 0x88
	v_mov_b32_e32 v20, s12
	v_mov_b32_e32 v21, s14
	s_add_u32 s30, s4, 0xc8
	v_sub_f32_e32 v25, s13, v20
	v_sub_f32_e64 v26, -s12, v21
	v_sub_f32_e32 v27, s14, v20
	v_sub_f32_e64 v28, -s13, v21
	s_addc_u32 s31, s5, 0
	s_waitcnt lgkmcnt(0)
	s_abs_i32 s15, s19
	v_mul_f32_e32 v22, v14, v14
	v_fma_f64 v[12:13], -v[2:3], v[6:7], 1.0
	v_mul_f32_e32 v0, 0x40400000, v0
	v_mul_f32_e32 v30, 0x40400000, v25
	v_mul_f32_e32 v31, 0x40400000, v26
	v_mul_f32_e32 v32, 0x40400000, v27
	v_mul_f32_e32 v33, 0x40400000, v28
	v_mul_f32_e32 v38, 0x40400000, v29
	v_mul_f32_e64 v40, s13, s13
	v_fma_f64 v[6:7], v[6:7], v[12:13], v[6:7]
	v_cvt_f64_f32_e32 v[10:11], v10
	v_cvt_f64_f32_e32 v[14:15], v15
	v_cvt_f32_u32_e32 v42, s15
	v_cvt_f64_f32_e32 v[12:13], v22
	v_cvt_f64_f32_e32 v[20:21], v23
	;; [unrolled: 1-line block ×4, first 2 shown]
	v_fma_f64 v[18:19], -v[2:3], v[6:7], 1.0
	v_cvt_f64_f32_e32 v[26:27], v30
	v_cvt_f64_f32_e32 v[28:29], v31
	;; [unrolled: 1-line block ×5, first 2 shown]
	v_fmac_f32_e64 v40, s12, s12
	v_fmac_f32_e64 v40, s14, s14
	v_fma_f64 v[6:7], v[6:7], v[18:19], v[6:7]
	v_mul_f32_e32 v0, 0x40400000, v40
	v_cvt_f64_f32_e32 v[40:41], v0
	v_rcp_iflag_f32_e32 v0, v42
	v_fma_f64 v[10:11], v[12:13], 0.5, v[10:11]
	v_fma_f64 v[12:13], v[20:21], 0.5, v[14:15]
	;; [unrolled: 1-line block ×3, first 2 shown]
	v_mul_f64 v[16:17], v[24:25], v[24:25]
	v_mul_f64 v[18:19], v[4:5], v[6:7]
	v_add_f64 v[20:21], v[26:27], 1.0
	v_mul_f64 v[22:23], v[26:27], v[26:27]
	v_add_f64 v[42:43], v[28:29], 1.0
	;; [unrolled: 2-line block ×4, first 2 shown]
	v_fma_f64 v[2:3], -v[2:3], v[18:19], v[4:5]
	v_add_f64 v[4:5], v[24:25], 1.0
	v_mul_f64 v[52:53], v[38:39], v[38:39]
	v_fma_f64 v[56:57], v[40:41], -0.5, v[10:11]
	v_fma_f64 v[10:11], v[22:23], 0.5, v[20:21]
	v_mov_b32_e32 v8, s10
	v_mov_b32_e32 v9, s11
	v_fma_f64 v[22:23], v[40:41], -0.5, v[12:13]
	v_div_fmas_f64 v[2:3], v[2:3], v[6:7], v[18:19]
	v_add_f64 v[6:7], v[30:31], 1.0
	v_mul_f64 v[18:19], v[30:31], v[30:31]
	v_fma_f64 v[4:5], v[16:17], 0.5, v[4:5]
	v_fma_f64 v[16:17], v[44:45], 0.5, v[42:43]
	;; [unrolled: 1-line block ×3, first 2 shown]
	v_fma_f64 v[54:55], v[40:41], -0.5, 1.0
	s_abs_i32 s33, s3
	s_mov_b32 s22, 0
	s_mov_b32 s23, 0x40280000
	v_fma_f64 v[6:7], v[18:19], 0.5, v[6:7]
	v_fma_f64 v[18:19], v[48:49], 0.5, v[46:47]
	v_mul_f32_e32 v0, 0x4f7ffffe, v0
	v_cvt_u32_f32_e32 v0, v0
	s_sub_i32 s24, 0, s15
	v_cvt_f64_f32_e32 v[34:35], s12
	v_div_fixup_f64 v[42:43], v[2:3], s[20:21], v[8:9]
	v_fma_f64 v[2:3], v[40:41], -0.5, v[4:5]
	v_fma_f64 v[4:5], v[40:41], -0.5, v[10:11]
	;; [unrolled: 1-line block ×7, first 2 shown]
	v_add_f64 v[40:41], v[42:43], v[42:43]
	v_mul_f64 v[2:3], v[42:43], v[2:3]
	v_mul_f64 v[4:5], v[42:43], v[4:5]
	;; [unrolled: 1-line block ×10, first 2 shown]
	v_fma_f64 v[20:21], -v[40:41], v[24:25], v[2:3]
	v_fma_f64 v[22:23], -v[40:41], v[26:27], v[4:5]
	;; [unrolled: 1-line block ×6, first 2 shown]
	v_cvt_f32_u32_e32 v40, s33
	v_cvt_f64_f32_e32 v[36:37], s13
	v_cvt_f64_f32_e32 v[38:39], s14
	s_load_dword s44, s[0:1], 0xc
	v_rcp_iflag_f32_e32 v40, v40
	v_mul_lo_u32 v44, s24, v0
	s_load_dwordx2 s[34:35], s[4:5], 0x28
	s_load_dwordx4 s[20:23], s[4:5], 0x18
	s_load_dword s45, s[0:1], 0x4
	v_mul_f64 v[32:33], v[42:43], v[54:55]
	v_mul_f32_e32 v40, 0x4f7ffffe, v40
	v_cvt_u32_f32_e32 v40, v40
	v_fma_f64 v[34:35], v[42:43], v[34:35], v[14:15]
	v_fma_f64 v[36:37], v[42:43], v[36:37], v[16:17]
	;; [unrolled: 1-line block ×3, first 2 shown]
	v_mul_hi_u32 v42, v0, v44
	s_waitcnt lgkmcnt(0)
	s_abs_i32 s46, s44
	v_cvt_f32_u32_e32 v41, s46
	s_abs_i32 s48, s17
	v_readfirstlane_b32 s0, v40
	v_cvt_f32_u32_e32 v40, s48
	s_abs_i32 s49, s45
	v_add_u32_e32 v0, v0, v42
	v_cvt_f32_u32_e32 v42, s49
	v_rcp_iflag_f32_e32 v41, v41
	v_rcp_iflag_f32_e32 v40, v40
	s_sub_i32 s1, 0, s46
	v_rcp_iflag_f32_e32 v42, v42
	v_mul_f32_e32 v41, 0x4f7ffffe, v41
	v_cvt_u32_f32_e32 v41, v41
	v_mul_f32_e32 v40, 0x4f7ffffe, v40
	v_cvt_u32_f32_e32 v40, v40
	;; [unrolled: 2-line block ×3, first 2 shown]
	buffer_store_dword v0, off, s[76:79], 0 offset:20 ; 4-byte Folded Spill
	v_mul_lo_u32 v0, s1, v41
	s_sub_i32 s1, 0, s48
	v_mul_lo_u32 v44, s1, v40
	s_sub_i32 s1, 0, s49
	v_mul_lo_u32 v45, s1, v42
	v_mul_hi_u32 v0, v41, v0
	s_abs_i32 s47, s9
	v_cvt_f32_u32_e32 v43, s47
	v_mul_hi_u32 v45, v42, v45
	v_add_u32_e32 v0, v41, v0
	buffer_store_dword v0, off, s[76:79], 0 offset:24 ; 4-byte Folded Spill
	v_rcp_iflag_f32_e32 v43, v43
	v_add_u32_e32 v0, v42, v45
	buffer_store_dword v0, off, s[76:79], 0 offset:8 ; 4-byte Folded Spill
	s_load_dwordx4 s[24:27], s[4:5], 0x48
	s_load_dwordx2 s[36:37], s[4:5], 0x58
	s_load_dword s40, s[4:5], 0x80
	s_nop 0
	s_load_dword s4, s[4:5], 0x78
	v_mul_f32_e32 v43, 0x4f7ffffe, v43
	s_lshr_b32 s5, s38, 16
	v_cvt_u32_f32_e32 v43, v43
	s_mul_i32 s7, s7, s5
	s_waitcnt lgkmcnt(0)
	s_add_i32 s40, s40, s19
	s_add_i32 s39, s39, s3
	v_add_u32_e32 v0, s7, v1
	s_sub_i32 s7, s40, s18
	s_sub_i32 s18, s39, s2
	s_sub_i32 s2, 0, s33
	s_mul_i32 s2, s2, s0
	s_mul_hi_u32 s2, s0, s2
	v_mul_hi_u32 v44, v40, v44
	v_readfirstlane_b32 s1, v43
	s_add_i32 s50, s0, s2
	s_sub_i32 s0, 0, s47
	s_mul_i32 s0, s0, s1
	s_mul_hi_u32 s0, s1, s0
	s_add_i32 s51, s1, s0
	s_add_i32 s0, s17, s4
	v_add_u32_e32 v49, v40, v44
	v_cmp_gt_i32_e32 vcc, s44, v0
	s_mul_i32 s28, s28, s5
	s_sub_i32 s16, s0, s16
	buffer_store_dword v0, off, s[76:79], 0 offset:32 ; 4-byte Folded Spill
	s_branch .LBB2_3
.LBB2_2:                                ;   in Loop: Header=BB2_3 Depth=1
	s_or_b64 exec, exec, s[4:5]
	s_add_i32 s8, s29, s8
	s_cmp_ge_i32 s8, s9
	s_cbranch_scc1 .LBB2_9
.LBB2_3:                                ; =>This Loop Header: Depth=1
                                        ;     Child Loop BB2_6 Depth 2
                                        ;       Child Loop BB2_8 Depth 3
	s_and_saveexec_b64 s[4:5], vcc
	s_cbranch_execz .LBB2_2
; %bb.4:                                ;   in Loop: Header=BB2_3 Depth=1
	s_load_dword s0, s[30:31], 0xc
	s_load_dword s52, s[30:31], 0x0
	buffer_load_dword v0, off, s[76:79], 0 offset:28 ; 4-byte Folded Reload
	s_add_i32 s2, s8, s18
	s_ashr_i32 s38, s2, 31
	s_waitcnt lgkmcnt(0)
	s_and_b32 s0, s0, 0xffff
	s_mul_i32 s1, s6, s0
	s_mul_i32 s52, s52, s0
	s_abs_i32 s2, s2
	s_mul_hi_u32 s39, s2, s50
	s_mul_i32 s39, s39, s33
	s_sub_i32 s2, s2, s39
	s_add_i32 s3, s8, s9
	s_sub_i32 s39, s2, s33
	s_cmp_ge_u32 s2, s33
	s_cselect_b32 s2, s39, s2
	s_sub_i32 s39, s2, s33
	s_cmp_ge_u32 s2, s33
	s_cselect_b32 s2, s39, s2
	s_xor_b32 s2, s2, s38
	s_sub_i32 s53, s2, s38
	s_ashr_i32 s2, s3, 31
	s_abs_i32 s3, s3
	s_mul_hi_u32 s38, s3, s51
	s_mul_i32 s38, s38, s47
	s_sub_i32 s3, s3, s38
	s_sub_i32 s38, s3, s47
	s_cmp_ge_u32 s3, s47
	s_cselect_b32 s3, s38, s3
	s_sub_i32 s38, s3, s47
	s_cmp_ge_u32 s3, s47
	s_cselect_b32 s3, s38, s3
	s_xor_b32 s3, s3, s2
	s_sub_i32 s2, s3, s2
	s_mul_i32 s54, s2, s44
	s_add_i32 s2, s2, s9
	s_mul_i32 s55, s2, s44
	s_add_i32 s2, s2, s9
	;; [unrolled: 2-line block ×17, first 2 shown]
	s_add_i32 s72, s2, s9
	s_mul_i32 s53, s53, s19
	s_mul_i32 s71, s2, s44
	;; [unrolled: 1-line block ×3, first 2 shown]
	s_mov_b64 s[38:39], 0
	s_waitcnt vmcnt(0)
	v_add_u32_e32 v0, s1, v0
	buffer_store_dword v0, off, s[76:79], 0 offset:16 ; 4-byte Folded Spill
	v_cmp_gt_i32_e64 s[0:1], s45, v0
	buffer_load_dword v0, off, s[76:79], 0 offset:32 ; 4-byte Folded Reload
	s_waitcnt vmcnt(0)
	buffer_store_dword v0, off, s[76:79], 0 offset:12 ; 4-byte Folded Spill
	s_branch .LBB2_6
.LBB2_5:                                ;   in Loop: Header=BB2_6 Depth=2
	s_or_b64 exec, exec, s[40:41]
	buffer_load_dword v0, off, s[76:79], 0 offset:12 ; 4-byte Folded Reload
	s_waitcnt vmcnt(0)
	v_add_u32_e32 v0, s28, v0
	v_cmp_le_i32_e64 s[2:3], s44, v0
	s_or_b64 s[38:39], s[2:3], s[38:39]
	buffer_store_dword v0, off, s[76:79], 0 offset:12 ; 4-byte Folded Spill
	s_andn2_b64 exec, exec, s[38:39]
	s_cbranch_execz .LBB2_2
.LBB2_6:                                ;   Parent Loop BB2_3 Depth=1
                                        ; =>  This Loop Header: Depth=2
                                        ;       Child Loop BB2_8 Depth 3
	s_and_saveexec_b64 s[40:41], s[0:1]
	s_cbranch_execz .LBB2_5
; %bb.7:                                ;   in Loop: Header=BB2_6 Depth=2
	buffer_load_dword v41, off, s[76:79], 0 offset:12 ; 4-byte Folded Reload
	buffer_load_dword v40, off, s[76:79], 0 offset:20 ; 4-byte Folded Reload
	;; [unrolled: 1-line block ×4, first 2 shown]
	s_mov_b64 s[42:43], 0
	s_waitcnt vmcnt(3)
	v_add_u32_e32 v0, s7, v41
	v_sub_u32_e32 v1, 0, v0
	v_max_i32_e32 v1, v0, v1
	s_waitcnt vmcnt(2)
	v_mul_hi_u32 v40, v1, v40
	v_add_u32_e32 v41, s44, v41
	v_sub_u32_e32 v42, 0, v41
	v_max_i32_e32 v42, v41, v42
	v_mul_lo_u32 v40, v40, s15
	s_waitcnt vmcnt(1)
	v_mul_hi_u32 v43, v42, v43
	v_ashrrev_i32_e32 v0, 31, v0
	v_sub_u32_e32 v1, v1, v40
	v_subrev_u32_e32 v40, s15, v1
	v_cmp_le_u32_e64 s[2:3], s15, v1
	v_cndmask_b32_e64 v1, v1, v40, s[2:3]
	v_subrev_u32_e32 v40, s15, v1
	v_cmp_le_u32_e64 s[2:3], s15, v1
	v_cndmask_b32_e64 v1, v1, v40, s[2:3]
	v_xor_b32_e32 v1, v1, v0
	v_sub_u32_e32 v0, v1, v0
	v_mul_lo_u32 v1, v43, s46
	v_add_u32_e32 v0, s53, v0
	v_mul_lo_u32 v0, v0, s17
	v_sub_u32_e32 v1, v42, v1
	v_subrev_u32_e32 v40, s46, v1
	v_cmp_le_u32_e64 s[2:3], s46, v1
	v_cndmask_b32_e64 v1, v1, v40, s[2:3]
	v_subrev_u32_e32 v40, s46, v1
	v_cmp_le_u32_e64 s[2:3], s46, v1
	buffer_store_dword v0, off, s[76:79], 0 ; 4-byte Folded Spill
	v_ashrrev_i32_e32 v0, 31, v41
	v_cndmask_b32_e64 v1, v1, v40, s[2:3]
	v_xor_b32_e32 v1, v1, v0
	v_sub_u32_e32 v40, v1, v0
	v_add_u32_e32 v0, s54, v40
	v_mul_lo_u32 v0, v0, s45
	v_add_u32_e32 v41, s71, v40
	v_mul_lo_u32 v42, v41, s45
	buffer_store_dword v0, off, s[76:79], 0 offset:4 ; 4-byte Folded Spill
	v_add_u32_e32 v0, s55, v40
	v_mul_lo_u32 v50, v0, s45
	v_add_u32_e32 v0, s56, v40
	v_mul_lo_u32 v51, v0, s45
	;; [unrolled: 2-line block ×15, first 2 shown]
	v_add_u32_e32 v0, s70, v40
	v_add_u32_e32 v40, s72, v40
	v_mul_lo_u32 v0, v0, s45
	v_mul_lo_u32 v43, v40, s45
.LBB2_8:                                ;   Parent Loop BB2_3 Depth=1
                                        ;     Parent Loop BB2_6 Depth=2
                                        ; =>    This Inner Loop Header: Depth=3
	s_waitcnt vmcnt(2)
	v_add_u32_e32 v40, s16, v46
	v_sub_u32_e32 v44, 0, v40
	v_ashrrev_i32_e32 v41, 31, v40
	v_max_i32_e32 v40, v40, v44
	v_mul_hi_u32 v44, v40, v49
	v_mov_b32_e32 v47, s25
	v_mul_lo_u32 v44, v44, s48
	v_sub_u32_e32 v40, v40, v44
	v_cmp_le_u32_e64 s[2:3], s48, v40
	v_subrev_u32_e32 v44, s48, v40
	v_cndmask_b32_e64 v40, v40, v44, s[2:3]
	v_cmp_le_u32_e64 s[2:3], s48, v40
	v_subrev_u32_e32 v44, s48, v40
	v_cndmask_b32_e64 v40, v40, v44, s[2:3]
	v_xor_b32_e32 v40, v40, v41
	v_sub_u32_e32 v40, v40, v41
	buffer_load_dword v41, off, s[76:79], 0 ; 4-byte Folded Reload
	s_waitcnt vmcnt(0)
	v_add_u32_e32 v40, v41, v40
	v_ashrrev_i32_e32 v41, 31, v40
	v_lshlrev_b64 v[44:45], 3, v[40:41]
	v_lshlrev_b64 v[40:41], 2, v[40:41]
	v_add_co_u32_e64 v44, s[2:3], s24, v44
	v_addc_co_u32_e64 v45, s[2:3], v47, v45, s[2:3]
	v_mov_b32_e32 v48, s11
	v_mov_b32_e32 v47, s10
	global_store_dwordx2 v[44:45], v[47:48], off
	v_add_co_u32_e64 v44, s[2:3], s20, v40
	v_mov_b32_e32 v45, s21
	v_addc_co_u32_e64 v45, s[2:3], v45, v41, s[2:3]
	v_mov_b32_e32 v47, s12
	global_store_dword v[44:45], v47, off
	v_add_co_u32_e64 v44, s[2:3], s22, v40
	v_mov_b32_e32 v45, s23
	v_addc_co_u32_e64 v45, s[2:3], v45, v41, s[2:3]
	v_mov_b32_e32 v47, s13
	global_store_dword v[44:45], v47, off
	;; [unrolled: 5-line block ×3, first 2 shown]
	v_add_u32_e32 v40, s45, v46
	v_sub_u32_e32 v44, 0, v40
	v_ashrrev_i32_e32 v41, 31, v40
	v_max_i32_e32 v40, v40, v44
	buffer_load_dword v44, off, s[76:79], 0 offset:8 ; 4-byte Folded Reload
	v_add_u32_e32 v46, s52, v46
	s_waitcnt vmcnt(0)
	v_mul_hi_u32 v44, v40, v44
	v_mul_lo_u32 v44, v44, s49
	v_sub_u32_e32 v40, v40, v44
	v_cmp_le_u32_e64 s[2:3], s49, v40
	v_subrev_u32_e32 v44, s49, v40
	v_cndmask_b32_e64 v40, v40, v44, s[2:3]
	v_cmp_le_u32_e64 s[2:3], s49, v40
	v_subrev_u32_e32 v44, s49, v40
	v_cndmask_b32_e64 v40, v40, v44, s[2:3]
	v_xor_b32_e32 v40, v40, v41
	v_sub_u32_e32 v40, v40, v41
	buffer_load_dword v41, off, s[76:79], 0 offset:4 ; 4-byte Folded Reload
	s_waitcnt vmcnt(0)
	v_add_u32_e32 v44, v41, v40
	v_ashrrev_i32_e32 v45, 31, v44
	v_lshlrev_b64 v[44:45], 3, v[44:45]
	v_mov_b32_e32 v41, s27
	v_add_co_u32_e64 v47, s[2:3], s26, v44
	v_addc_co_u32_e64 v48, s[2:3], v41, v45, s[2:3]
	v_add_co_u32_e64 v44, s[2:3], s36, v44
	v_mov_b32_e32 v41, s37
	v_addc_co_u32_e64 v45, s[2:3], v41, v45, s[2:3]
	global_store_dwordx2 v[47:48], v[32:33], off
	global_store_dwordx2 v[44:45], v[32:33], off
	v_add_u32_e32 v44, v50, v40
	v_ashrrev_i32_e32 v45, 31, v44
	v_lshlrev_b64 v[44:45], 3, v[44:45]
	v_mov_b32_e32 v41, s27
	v_add_co_u32_e64 v47, s[2:3], s26, v44
	v_addc_co_u32_e64 v48, s[2:3], v41, v45, s[2:3]
	v_add_co_u32_e64 v44, s[2:3], s36, v44
	v_mov_b32_e32 v41, s37
	v_addc_co_u32_e64 v45, s[2:3], v41, v45, s[2:3]
	global_store_dwordx2 v[47:48], v[14:15], off
	global_store_dwordx2 v[44:45], v[14:15], off
	;; [unrolled: 11-line block ×17, first 2 shown]
	v_add_u32_e32 v44, v42, v40
	v_ashrrev_i32_e32 v45, 31, v44
	v_lshlrev_b64 v[44:45], 3, v[44:45]
	v_mov_b32_e32 v41, s27
	v_add_co_u32_e64 v47, s[2:3], s26, v44
	v_addc_co_u32_e64 v48, s[2:3], v41, v45, s[2:3]
	v_add_co_u32_e64 v44, s[2:3], s36, v44
	v_mov_b32_e32 v41, s37
	v_add_u32_e32 v40, v43, v40
	v_addc_co_u32_e64 v45, s[2:3], v41, v45, s[2:3]
	v_ashrrev_i32_e32 v41, 31, v40
	v_lshlrev_b64 v[40:41], 3, v[40:41]
	global_store_dwordx2 v[47:48], v[28:29], off
	global_store_dwordx2 v[44:45], v[28:29], off
	v_add_co_u32_e64 v44, s[2:3], s26, v40
	v_mov_b32_e32 v45, s27
	v_addc_co_u32_e64 v45, s[2:3], v45, v41, s[2:3]
	global_store_dwordx2 v[44:45], v[30:31], off
	v_add_co_u32_e64 v40, s[2:3], s36, v40
	v_mov_b32_e32 v44, s37
	v_addc_co_u32_e64 v41, s[2:3], v44, v41, s[2:3]
	v_cmp_le_i32_e64 s[2:3], s45, v46
	s_or_b64 s[42:43], s[2:3], s[42:43]
	global_store_dwordx2 v[40:41], v[30:31], off
	s_andn2_b64 exec, exec, s[42:43]
	s_cbranch_execnz .LBB2_8
	s_branch .LBB2_5
.LBB2_9:
	s_endpgm
	.section	.rodata,"a",@progbits
	.p2align	6, 0x0
	.amdhsa_kernel _Z15init_velocity_gIL12lattice_type19EEv8lbm_vars5BoxCUS2_dfffd
		.amdhsa_group_segment_fixed_size 0
		.amdhsa_private_segment_fixed_size 40
		.amdhsa_kernarg_size 456
		.amdhsa_user_sgpr_count 6
		.amdhsa_user_sgpr_private_segment_buffer 1
		.amdhsa_user_sgpr_dispatch_ptr 0
		.amdhsa_user_sgpr_queue_ptr 0
		.amdhsa_user_sgpr_kernarg_segment_ptr 1
		.amdhsa_user_sgpr_dispatch_id 0
		.amdhsa_user_sgpr_flat_scratch_init 0
		.amdhsa_user_sgpr_private_segment_size 0
		.amdhsa_uses_dynamic_stack 0
		.amdhsa_system_sgpr_private_segment_wavefront_offset 1
		.amdhsa_system_sgpr_workgroup_id_x 1
		.amdhsa_system_sgpr_workgroup_id_y 1
		.amdhsa_system_sgpr_workgroup_id_z 1
		.amdhsa_system_sgpr_workgroup_info 0
		.amdhsa_system_vgpr_workitem_id 1
		.amdhsa_next_free_vgpr 64
		.amdhsa_next_free_sgpr 80
		.amdhsa_reserve_vcc 1
		.amdhsa_reserve_flat_scratch 0
		.amdhsa_float_round_mode_32 0
		.amdhsa_float_round_mode_16_64 0
		.amdhsa_float_denorm_mode_32 3
		.amdhsa_float_denorm_mode_16_64 3
		.amdhsa_dx10_clamp 1
		.amdhsa_ieee_mode 1
		.amdhsa_fp16_overflow 0
		.amdhsa_exception_fp_ieee_invalid_op 0
		.amdhsa_exception_fp_denorm_src 0
		.amdhsa_exception_fp_ieee_div_zero 0
		.amdhsa_exception_fp_ieee_overflow 0
		.amdhsa_exception_fp_ieee_underflow 0
		.amdhsa_exception_fp_ieee_inexact 0
		.amdhsa_exception_int_div_zero 0
	.end_amdhsa_kernel
	.section	.text._Z15init_velocity_gIL12lattice_type19EEv8lbm_vars5BoxCUS2_dfffd,"axG",@progbits,_Z15init_velocity_gIL12lattice_type19EEv8lbm_vars5BoxCUS2_dfffd,comdat
.Lfunc_end2:
	.size	_Z15init_velocity_gIL12lattice_type19EEv8lbm_vars5BoxCUS2_dfffd, .Lfunc_end2-_Z15init_velocity_gIL12lattice_type19EEv8lbm_vars5BoxCUS2_dfffd
                                        ; -- End function
	.set _Z15init_velocity_gIL12lattice_type19EEv8lbm_vars5BoxCUS2_dfffd.num_vgpr, 64
	.set _Z15init_velocity_gIL12lattice_type19EEv8lbm_vars5BoxCUS2_dfffd.num_agpr, 0
	.set _Z15init_velocity_gIL12lattice_type19EEv8lbm_vars5BoxCUS2_dfffd.numbered_sgpr, 80
	.set _Z15init_velocity_gIL12lattice_type19EEv8lbm_vars5BoxCUS2_dfffd.num_named_barrier, 0
	.set _Z15init_velocity_gIL12lattice_type19EEv8lbm_vars5BoxCUS2_dfffd.private_seg_size, 40
	.set _Z15init_velocity_gIL12lattice_type19EEv8lbm_vars5BoxCUS2_dfffd.uses_vcc, 1
	.set _Z15init_velocity_gIL12lattice_type19EEv8lbm_vars5BoxCUS2_dfffd.uses_flat_scratch, 0
	.set _Z15init_velocity_gIL12lattice_type19EEv8lbm_vars5BoxCUS2_dfffd.has_dyn_sized_stack, 0
	.set _Z15init_velocity_gIL12lattice_type19EEv8lbm_vars5BoxCUS2_dfffd.has_recursion, 0
	.set _Z15init_velocity_gIL12lattice_type19EEv8lbm_vars5BoxCUS2_dfffd.has_indirect_call, 0
	.section	.AMDGPU.csdata,"",@progbits
; Kernel info:
; codeLenInByte = 4048
; TotalNumSgprs: 84
; NumVgprs: 64
; ScratchSize: 40
; MemoryBound: 0
; FloatMode: 240
; IeeeMode: 1
; LDSByteSize: 0 bytes/workgroup (compile time only)
; SGPRBlocks: 10
; VGPRBlocks: 15
; NumSGPRsForWavesPerEU: 84
; NumVGPRsForWavesPerEU: 64
; Occupancy: 4
; WaveLimiterHint : 1
; COMPUTE_PGM_RSRC2:SCRATCH_EN: 1
; COMPUTE_PGM_RSRC2:USER_SGPR: 6
; COMPUTE_PGM_RSRC2:TRAP_HANDLER: 0
; COMPUTE_PGM_RSRC2:TGID_X_EN: 1
; COMPUTE_PGM_RSRC2:TGID_Y_EN: 1
; COMPUTE_PGM_RSRC2:TGID_Z_EN: 1
; COMPUTE_PGM_RSRC2:TIDIG_COMP_CNT: 1
	.section	.text._Z20collide_and_stream_gIL12lattice_type19EEv8lbm_vars5BoxCUddbi,"axG",@progbits,_Z20collide_and_stream_gIL12lattice_type19EEv8lbm_vars5BoxCUddbi,comdat
	.protected	_Z20collide_and_stream_gIL12lattice_type19EEv8lbm_vars5BoxCUddbi ; -- Begin function _Z20collide_and_stream_gIL12lattice_type19EEv8lbm_vars5BoxCUddbi
	.globl	_Z20collide_and_stream_gIL12lattice_type19EEv8lbm_vars5BoxCUddbi
	.p2align	8
	.type	_Z20collide_and_stream_gIL12lattice_type19EEv8lbm_vars5BoxCUddbi,@function
_Z20collide_and_stream_gIL12lattice_type19EEv8lbm_vars5BoxCUddbi: ; @_Z20collide_and_stream_gIL12lattice_type19EEv8lbm_vars5BoxCUddbi
; %bb.0:
	s_load_dword s43, s[4:5], 0x8c
	s_add_u32 s0, s4, 0x78
	s_addc_u32 s1, s5, 0
                                        ; implicit-def: $vgpr139 : SGPR spill to VGPR lane
	v_writelane_b32 v139, s6, 0
	s_waitcnt lgkmcnt(0)
	s_cmp_ge_i32 s8, s43
	s_cbranch_scc1 .LBB3_119
; %bb.1:
	s_load_dword s2, s[4:5], 0xa0
	s_load_dwordx4 s[20:23], s[4:5], 0x90
	s_load_dwordx2 s[28:29], s[4:5], 0x70
	s_load_dwordx2 s[36:37], s[4:5], 0xac
	s_load_dword s3, s[4:5], 0xb4
	s_load_dword s9, s[0:1], 0x4
	;; [unrolled: 1-line block ×3, first 2 shown]
	s_waitcnt lgkmcnt(0)
	s_bitcmp1_b32 s2, 0
	v_cvt_f32_f64_e32 v5, s[20:21]
	s_cselect_b64 s[34:35], -1, 0
	s_add_u32 s0, s4, 0xa8
	s_addc_u32 s1, s5, 0
	v_writelane_b32 v139, s0, 1
	s_mul_i32 s40, s43, s78
	v_writelane_b32 v139, s1, 2
	s_mul_i32 s2, s40, 13
	v_cvt_f64_f32_e64 v[3:4], -v5
	v_cvt_f64_f32_e32 v[9:10], v5
	s_lshr_b32 s1, s3, 16
	s_mul_i32 s3, s40, 14
	v_writelane_b32 v139, s2, 3
	s_mul_i32 s7, s7, s1
	s_mul_i32 s10, s2, s9
	v_writelane_b32 v139, s3, 4
	s_mul_i32 s12, s3, s9
	s_mov_b32 s2, 0x55555555
	v_add_u32_e32 v91, s7, v1
	s_mul_i32 s7, s40, 15
	s_mov_b32 s3, 0x3fd55555
	v_add_f32_e32 v5, 0, v5
	v_writelane_b32 v139, s7, 5
	s_mul_i32 s14, s7, s9
	v_mul_f64 v[1:2], v[3:4], s[2:3]
	s_mov_b32 s20, s2
	s_abs_i32 s42, s78
	v_cvt_f64_f32_e32 v[7:8], v5
	v_mul_f64 v[5:6], v[9:10], s[2:3]
	s_abs_i32 s2, s9
	s_abs_i32 s7, s43
	v_cvt_f32_u32_e32 v11, s42
	v_cvt_f32_u32_e32 v14, s2
	;; [unrolled: 1-line block ×3, first 2 shown]
	s_mov_b32 s33, s8
	v_rcp_iflag_f32_e32 v13, v11
	v_rcp_iflag_f32_e32 v14, v14
	;; [unrolled: 1-line block ×3, first 2 shown]
	s_lshl_b32 s8, s40, 4
	s_mul_i32 s11, s40, 17
	v_writelane_b32 v139, s8, 6
	s_mul_i32 s13, s40, 18
	v_writelane_b32 v139, s11, 7
	v_mul_f32_e32 v13, 0x4f7ffffe, v13
	v_mul_f32_e32 v14, 0x4f7ffffe, v14
	;; [unrolled: 1-line block ×3, first 2 shown]
	v_writelane_b32 v139, s13, 8
	v_cvt_u32_f32_e32 v13, v13
	v_cvt_u32_f32_e32 v14, v14
	;; [unrolled: 1-line block ×3, first 2 shown]
	v_writelane_b32 v139, s36, 9
	v_writelane_b32 v139, s37, 10
	s_mul_i32 s1, s36, s1
	s_sub_i32 s3, 0, s42
	v_writelane_b32 v139, s1, 11
	s_sub_i32 s1, 0, s2
	v_mul_lo_u32 v16, s3, v13
	v_mul_lo_u32 v17, s1, v14
	s_sub_i32 s1, 0, s7
	v_readfirstlane_b32 s3, v15
	s_mul_i32 s1, s1, s3
	s_mul_i32 s0, s40, s9
	s_mul_hi_u32 s1, s3, s1
	s_mul_i32 s52, s0, 11
	v_writelane_b32 v139, s7, 12
	s_add_i32 s1, s3, s1
	v_writelane_b32 v139, s1, 13
	s_ashr_i32 s53, s52, 31
	s_mul_i32 s54, s0, 12
	v_writelane_b32 v139, s52, 14
	v_writelane_b32 v139, s53, 15
	s_ashr_i32 s55, s54, 31
	v_writelane_b32 v139, s54, 16
	v_writelane_b32 v139, s55, 17
	s_lshl_b32 s3, s40, 3
	v_writelane_b32 v139, s3, 18
	s_mov_b32 s21, 0x3fc55555
	v_mul_hi_u32 v16, v13, v16
	s_mul_i32 s36, s3, s9
	v_writelane_b32 v139, s40, 19
	s_mul_i32 s3, s40, 9
	v_mul_f64 v[3:4], v[3:4], s[20:21]
	v_mul_f64 v[7:8], v[7:8], s[20:21]
	;; [unrolled: 1-line block ×3, first 2 shown]
	v_add_f64 v[11:12], -s[22:23], 1.0
	v_writelane_b32 v139, s3, 20
	s_mul_i32 s40, s3, s9
	s_load_dword s3, s[4:5], 0x8c
	s_mul_i32 s6, s0, 10
	s_mul_i32 s16, s8, s9
	;; [unrolled: 1-line block ×4, first 2 shown]
	s_ashr_i32 s7, s6, 31
	s_ashr_i32 s13, s12, 31
	;; [unrolled: 1-line block ×5, first 2 shown]
	s_load_dwordx2 s[38:39], s[4:5], 0x28
	s_load_dwordx4 s[24:27], s[4:5], 0x18
	v_add_u32_e32 v92, v13, v16
	v_mul_hi_u32 v13, v14, v17
	s_lshl_b64 s[56:57], s[6:7], 3
	s_lshl_b64 s[60:61], s[12:13], 3
	;; [unrolled: 1-line block ×5, first 2 shown]
	s_load_dword s7, s[4:5], 0x8c
	s_load_dwordx8 s[12:19], s[4:5], 0x50
	s_ashr_i32 s1, s0, 31
	s_waitcnt lgkmcnt(0)
	s_mul_i32 s3, s3, s9
	s_lshl_b32 s44, s0, 1
	s_mul_i32 s46, s0, 3
	s_lshl_b32 s48, s0, 2
	s_mul_i32 s50, s0, 5
	s_ashr_i32 s11, s10, 31
	s_ashr_i32 s31, s30, 31
	s_mul_i32 s20, s0, 6
	s_mul_i32 s52, s0, 7
	s_ashr_i32 s37, s36, 31
	v_writelane_b32 v139, s43, 21
	s_ashr_i32 s41, s40, 31
	s_mul_i32 s54, s3, s78
	s_lshl_b64 s[70:71], s[0:1], 3
	s_mov_b32 s76, 0
	v_cmp_gt_i32_e64 s[0:1], s78, v91
	v_add_u32_e32 v93, v14, v13
	s_ashr_i32 s45, s44, 31
	s_ashr_i32 s47, s46, 31
	;; [unrolled: 1-line block ×7, first 2 shown]
	s_lshl_b64 s[58:59], s[10:11], 3
	s_lshl_b64 s[68:69], s[30:31], 3
	;; [unrolled: 1-line block ×4, first 2 shown]
	s_mov_b32 s6, s33
	v_mov_b32_e32 v94, -2
	v_mov_b32_e32 v95, 2
	v_mov_b32_e32 v96, 3
	;; [unrolled: 1-line block ×5, first 2 shown]
	s_add_i32 s3, s54, s54
	s_mov_b32 s33, 0xc0400000
	s_mov_b32 s77, 0x40420000
	s_mov_b32 s43, s78
	v_writelane_b32 v139, s0, 22
                                        ; implicit-def: $vgpr100
                                        ; implicit-def: $vgpr13_vgpr14
	v_writelane_b32 v139, s1, 23
	s_branch .LBB3_4
.LBB3_2:                                ;   in Loop: Header=BB3_4 Depth=1
	s_or_b64 exec, exec, s[80:81]
	v_readlane_b32 s6, v139, 26
	v_readlane_b32 s7, v139, 21
.LBB3_3:                                ;   in Loop: Header=BB3_4 Depth=1
	v_readlane_b32 s0, v139, 24
	v_readlane_b32 s1, v139, 25
	s_or_b64 exec, exec, s[0:1]
	v_readlane_b32 s0, v139, 9
	v_readlane_b32 s1, v139, 10
	s_add_i32 s6, s1, s6
	s_cmp_ge_i32 s6, s7
	s_cbranch_scc1 .LBB3_119
.LBB3_4:                                ; =>This Loop Header: Depth=1
                                        ;     Child Loop BB3_8 Depth 2
                                        ;       Child Loop BB3_12 Depth 3
	s_mov_b64 s[4:5], exec
	v_readlane_b32 s0, v139, 22
	v_readlane_b32 s1, v139, 23
	v_writelane_b32 v139, s4, 24
	s_and_b64 s[0:1], s[4:5], s[0:1]
	v_writelane_b32 v139, s5, 25
	s_mov_b64 exec, s[0:1]
	s_cbranch_execz .LBB3_3
; %bb.5:                                ;   in Loop: Header=BB3_4 Depth=1
	v_readlane_b32 s4, v139, 1
	v_readlane_b32 s5, v139, 2
	s_load_dword s0, s[4:5], 0xc
	s_load_dword s40, s[4:5], 0x0
	v_writelane_b32 v139, s6, 26
	s_add_i32 s1, s6, s7
	v_readlane_b32 s6, v139, 0
	s_waitcnt lgkmcnt(0)
	s_and_b32 s0, s0, 0xffff
	s_mul_i32 s6, s6, s0
	v_add_u32_e32 v101, s6, v0
	v_cmp_gt_i32_e64 s[6:7], s9, v101
	v_writelane_b32 v139, s6, 27
	v_writelane_b32 v139, s7, 28
	s_abs_i32 s6, s1
	v_readlane_b32 s11, v139, 13
	s_mul_hi_u32 s7, s6, s11
	v_readlane_b32 s10, v139, 12
	s_mul_i32 s7, s7, s10
	s_sub_i32 s6, s6, s7
	s_add_i32 s4, s1, 1
	s_add_i32 s5, s1, -1
	s_mul_i32 s40, s40, s0
	s_ashr_i32 s0, s1, 31
	s_sub_i32 s7, s6, s10
	s_cmp_ge_u32 s6, s10
	s_cselect_b32 s6, s7, s6
	s_sub_i32 s7, s6, s10
	s_cmp_ge_u32 s6, s10
	s_cselect_b32 s6, s7, s6
	s_xor_b32 s6, s6, s0
	s_sub_i32 s41, s6, s0
	s_not_b32 s6, s1
	s_ashr_i32 s0, s4, 31
	s_max_i32 s4, s4, s6
	s_mul_hi_u32 s6, s4, s11
	s_mul_i32 s6, s6, s10
	s_sub_i32 s4, s4, s6
	s_sub_i32 s6, s4, s10
	s_cmp_ge_u32 s4, s10
	s_cselect_b32 s4, s6, s4
	s_sub_i32 s6, s4, s10
	s_cmp_ge_u32 s4, s10
	s_cselect_b32 s4, s6, s4
	s_sub_i32 s1, 1, s1
	s_xor_b32 s4, s4, s0
	s_max_i32 s1, s5, s1
	s_sub_i32 s0, s4, s0
	s_mul_hi_u32 s4, s1, s11
	s_mul_i32 s4, s4, s10
	s_sub_i32 s1, s1, s4
	s_mul_i32 s6, s0, s43
	s_ashr_i32 s0, s5, 31
	s_sub_i32 s4, s1, s10
	s_cmp_ge_u32 s1, s10
	s_cselect_b32 s1, s4, s1
	s_sub_i32 s4, s1, s10
	s_cmp_ge_u32 s1, s10
	s_cselect_b32 s1, s4, s1
	s_xor_b32 s1, s1, s0
	s_sub_i32 s0, s1, s0
	s_mul_i32 s1, s0, s43
	v_readlane_b32 s0, v139, 19
	s_add_i32 s0, s0, s1
	v_writelane_b32 v139, s0, 29
	v_readlane_b32 s0, v139, 7
	v_writelane_b32 v139, s1, 30
	s_add_i32 s0, s0, s1
	v_writelane_b32 v139, s0, 31
	v_readlane_b32 s0, v139, 8
	s_mul_i32 s41, s41, s43
	s_mov_b32 s8, s6
	s_add_i32 s0, s6, s0
	s_mov_b64 s[80:81], 0
	v_mov_b32_e32 v102, v91
	v_writelane_b32 v139, s0, 32
	s_branch .LBB3_8
.LBB3_6:                                ;   in Loop: Header=BB3_8 Depth=2
	s_or_b64 exec, exec, s[84:85]
.LBB3_7:                                ;   in Loop: Header=BB3_8 Depth=2
	s_or_b64 exec, exec, s[82:83]
	v_readlane_b32 s0, v139, 11
	v_add_u32_e32 v102, s0, v102
	v_cmp_le_i32_e32 vcc, s43, v102
	s_or_b64 s[80:81], vcc, s[80:81]
	s_andn2_b64 exec, exec, s[80:81]
	s_cbranch_execz .LBB3_2
.LBB3_8:                                ;   Parent Loop BB3_4 Depth=1
                                        ; =>  This Loop Header: Depth=2
                                        ;       Child Loop BB3_12 Depth 3
	s_mov_b64 s[82:83], exec
	v_readlane_b32 s0, v139, 27
	v_readlane_b32 s1, v139, 28
	s_and_b64 s[0:1], s[82:83], s[0:1]
	s_mov_b64 exec, s[0:1]
	s_cbranch_execz .LBB3_7
; %bb.9:                                ;   in Loop: Header=BB3_8 Depth=2
	v_add_u32_e32 v15, s43, v102
	v_sub_u32_e32 v16, 0, v15
	v_max_i32_e32 v16, v15, v16
	v_mul_hi_u32 v17, v16, v92
	v_ashrrev_i32_e32 v18, 31, v15
	v_add_u32_e32 v19, 1, v15
	v_not_b32_e32 v20, v15
	v_mul_lo_u32 v17, v17, s42
	v_max_i32_e32 v20, v19, v20
	v_add_u32_e32 v21, -1, v15
	v_sub_u32_e32 v15, 1, v15
	v_sub_u32_e32 v16, v16, v17
	v_subrev_u32_e32 v17, s42, v16
	v_cmp_le_u32_e32 vcc, s42, v16
	v_cndmask_b32_e32 v16, v16, v17, vcc
	v_subrev_u32_e32 v17, s42, v16
	v_cmp_le_u32_e32 vcc, s42, v16
	v_cndmask_b32_e32 v16, v16, v17, vcc
	v_xor_b32_e32 v16, v16, v18
	v_sub_u32_e32 v16, v16, v18
	v_mul_hi_u32 v18, v20, v92
	v_max_i32_e32 v15, v21, v15
	v_mul_hi_u32 v22, v15, v92
	v_add_u32_e32 v17, s41, v16
	v_readlane_b32 s0, v139, 19
	v_mul_lo_u32 v18, v18, s42
	v_mul_lo_u32 v103, v17, s9
	v_add_u32_e32 v17, s0, v17
	v_readlane_b32 s0, v139, 20
	v_mul_lo_u32 v104, v17, s9
	v_add_u32_e32 v17, s0, v17
	v_mul_lo_u32 v105, v17, s9
	v_mul_lo_u32 v17, v22, s42
	v_sub_u32_e32 v18, v20, v18
	v_subrev_u32_e32 v20, s42, v18
	v_cmp_le_u32_e32 vcc, s42, v18
	v_cndmask_b32_e32 v18, v18, v20, vcc
	v_subrev_u32_e32 v20, s42, v18
	v_cmp_le_u32_e32 vcc, s42, v18
	v_sub_u32_e32 v15, v15, v17
	v_cndmask_b32_e32 v18, v18, v20, vcc
	v_subrev_u32_e32 v17, s42, v15
	v_cmp_le_u32_e32 vcc, s42, v15
	v_cndmask_b32_e32 v15, v15, v17, vcc
	v_ashrrev_i32_e32 v19, 31, v19
	v_subrev_u32_e32 v17, s42, v15
	v_cmp_le_u32_e32 vcc, s42, v15
	v_xor_b32_e32 v18, v18, v19
	v_ashrrev_i32_e32 v21, 31, v21
	v_cndmask_b32_e32 v15, v15, v17, vcc
	v_sub_u32_e32 v18, v18, v19
	v_xor_b32_e32 v15, v15, v21
	v_add_u32_e32 v19, s41, v18
	v_sub_u32_e32 v15, v15, v21
	v_mul_lo_u32 v20, v19, s9
	v_add_u32_e32 v17, s41, v15
	s_mov_b32 s1, s8
	v_mul_lo_u32 v21, v17, s9
	v_readlane_b32 s0, v139, 30
	v_add_u32_e32 v23, s1, v16
	v_add_u32_e32 v16, s0, v16
	v_readlane_b32 s0, v139, 18
	v_add_u32_e32 v18, s0, v18
	v_readlane_b32 s0, v139, 29
	v_add_u32_e32 v106, s44, v20
	v_add_u32_e32 v108, s48, v20
	;; [unrolled: 1-line block ×4, first 2 shown]
	v_readlane_b32 s0, v139, 14
	v_add_u32_e32 v114, s0, v21
	v_readlane_b32 s0, v139, 3
	v_add_u32_e32 v17, s0, v17
	v_readlane_b32 s0, v139, 4
	v_mul_lo_u32 v115, v17, s9
	v_add_u32_e32 v17, s0, v19
	v_readlane_b32 s0, v139, 5
	v_mul_lo_u32 v22, v16, s9
	v_add_u32_e32 v16, s0, v16
	v_readlane_b32 s0, v139, 6
	v_mul_lo_u32 v117, v16, s9
	v_add_u32_e32 v16, s0, v23
	v_readlane_b32 s0, v139, 31
	v_mul_lo_u32 v118, v16, s9
	v_add_u32_e32 v16, s0, v15
	v_readlane_b32 s0, v139, 32
	v_mul_lo_u32 v24, v23, s9
	v_add_u32_e32 v15, s0, v15
	v_mul_lo_u32 v112, v20, s9
	v_mul_lo_u32 v113, v18, s9
	;; [unrolled: 1-line block ×5, first 2 shown]
	v_readlane_b32 s1, v139, 15
	v_readlane_b32 s0, v139, 16
	v_add_u32_e32 v107, s46, v24
	v_add_u32_e32 v109, s50, v21
	;; [unrolled: 1-line block ×5, first 2 shown]
	s_mov_b64 s[84:85], 0
	v_mov_b32_e32 v122, v101
	v_readlane_b32 s1, v139, 17
	s_branch .LBB3_12
.LBB3_10:                               ;   in Loop: Header=BB3_12 Depth=3
	s_or_b64 exec, exec, s[0:1]
	v_mov_b32_e32 v16, s15
	v_add_co_u32_e32 v49, vcc, s14, v49
	v_addc_co_u32_e32 v50, vcc, v16, v50, vcc
	s_lshl_b64 s[0:1], s[54:55], 3
	global_store_dwordx2 v[49:50], v[53:54], off
	v_mov_b32_e32 v16, s1
	v_add_co_u32_e32 v49, vcc, s0, v49
	v_add_u32_e32 v15, s3, v15
	v_addc_co_u32_e32 v50, vcc, v50, v16, vcc
	v_ashrrev_i32_e32 v16, 31, v15
	global_store_dwordx2 v[49:50], v[51:52], off
	v_lshlrev_b64 v[49:50], 3, v[15:16]
	v_mov_b32_e32 v16, s15
	v_add_co_u32_e32 v49, vcc, s14, v49
	v_add_u32_e32 v15, s54, v15
	v_addc_co_u32_e32 v50, vcc, v16, v50, vcc
	v_ashrrev_i32_e32 v16, 31, v15
	global_store_dwordx2 v[49:50], v[47:48], off
	v_lshlrev_b64 v[47:48], 3, v[15:16]
	;; [unrolled: 7-line block ×16, first 2 shown]
	v_mov_b32_e32 v16, s15
	v_add_co_u32_e32 v19, vcc, s14, v19
	v_add_u32_e32 v15, s54, v15
	v_addc_co_u32_e32 v20, vcc, v16, v20, vcc
	v_ashrrev_i32_e32 v16, 31, v15
	v_lshlrev_b64 v[15:16], 3, v[15:16]
	global_store_dwordx2 v[19:20], v[29:30], off
	v_mov_b32_e32 v19, s15
	v_add_co_u32_e32 v15, vcc, s14, v15
	v_addc_co_u32_e32 v16, vcc, v19, v16, vcc
	global_store_dwordx2 v[15:16], v[17:18], off
.LBB3_11:                               ;   in Loop: Header=BB3_12 Depth=3
	s_or_b64 exec, exec, s[86:87]
	v_add_u32_e32 v122, s40, v122
	v_cmp_le_i32_e32 vcc, s9, v122
	s_or_b64 s[84:85], vcc, s[84:85]
	s_andn2_b64 exec, exec, s[84:85]
	s_cbranch_execz .LBB3_6
.LBB3_12:                               ;   Parent Loop BB3_4 Depth=1
                                        ;     Parent Loop BB3_8 Depth=2
                                        ; =>    This Inner Loop Header: Depth=3
	v_add_u32_e32 v18, s9, v122
	v_sub_u32_e32 v15, 0, v18
	v_max_i32_e32 v15, v18, v15
	v_mul_hi_u32 v16, v15, v93
	v_ashrrev_i32_e32 v17, 31, v18
	v_mov_b32_e32 v20, s17
	s_mov_b64 s[0:1], 0
	v_mul_lo_u32 v16, v16, s2
	v_sub_u32_e32 v15, v15, v16
	v_subrev_u32_e32 v16, s2, v15
	v_cmp_le_u32_e32 vcc, s2, v15
	v_cndmask_b32_e32 v15, v15, v16, vcc
	v_subrev_u32_e32 v16, s2, v15
	v_cmp_le_u32_e32 vcc, s2, v15
	v_cndmask_b32_e32 v15, v15, v16, vcc
	v_xor_b32_e32 v15, v15, v17
	v_sub_u32_e32 v17, v15, v17
	v_add_u32_e32 v15, v103, v17
	v_ashrrev_i32_e32 v16, 31, v15
	v_add_co_u32_e32 v19, vcc, s16, v15
	v_addc_co_u32_e32 v20, vcc, v20, v16, vcc
	global_load_ubyte v61, v[19:20], off
	s_waitcnt vmcnt(0)
	v_cmp_lt_i16_e32 vcc, 9, v61
	s_and_saveexec_b64 s[4:5], vcc
	s_xor_b64 s[4:5], exec, s[4:5]
	s_cbranch_execnz .LBB3_15
; %bb.13:                               ;   in Loop: Header=BB3_12 Depth=3
	s_andn2_saveexec_b64 s[4:5], s[4:5]
	s_cbranch_execnz .LBB3_16
.LBB3_14:                               ;   in Loop: Header=BB3_12 Depth=3
	s_or_b64 exec, exec, s[4:5]
	s_and_saveexec_b64 s[86:87], s[0:1]
	s_cbranch_execz .LBB3_11
	s_branch .LBB3_17
.LBB3_15:                               ;   in Loop: Header=BB3_12 Depth=3
	v_cmp_ne_u16_e32 vcc, 10, v61
	s_and_b64 s[0:1], vcc, exec
	s_andn2_saveexec_b64 s[4:5], s[4:5]
	s_cbranch_execz .LBB3_14
.LBB3_16:                               ;   in Loop: Header=BB3_12 Depth=3
	v_cmp_ne_u16_e32 vcc, 4, v61
	s_andn2_b64 s[0:1], s[0:1], exec
	s_and_b64 s[6:7], vcc, exec
	s_or_b64 s[0:1], s[0:1], s[6:7]
	s_or_b64 exec, exec, s[4:5]
	s_and_saveexec_b64 s[86:87], s[0:1]
	s_cbranch_execz .LBB3_11
.LBB3_17:                               ;   in Loop: Header=BB3_12 Depth=3
	v_add_u32_e32 v19, 1, v18
	v_not_b32_e32 v20, v18
	v_max_i32_e32 v20, v19, v20
	v_mul_hi_u32 v21, v20, v93
	v_ashrrev_i32_e32 v19, 31, v19
	v_mov_b32_e32 v22, s13
	v_mov_b32_e32 v23, s13
	v_mul_lo_u32 v21, v21, s2
	v_mov_b32_e32 v25, s13
	v_mov_b32_e32 v27, s13
	;; [unrolled: 1-line block ×3, first 2 shown]
	v_sub_u32_e32 v20, v20, v21
	v_subrev_u32_e32 v21, s2, v20
	v_cmp_le_u32_e32 vcc, s2, v20
	v_cndmask_b32_e32 v20, v20, v21, vcc
	v_subrev_u32_e32 v21, s2, v20
	v_cmp_le_u32_e32 vcc, s2, v20
	v_cndmask_b32_e32 v20, v20, v21, vcc
	v_xor_b32_e32 v20, v20, v19
	v_sub_u32_e32 v31, v20, v19
	v_add_u32_e32 v19, v31, v104
	v_ashrrev_i32_e32 v20, 31, v19
	v_lshlrev_b64 v[19:20], 3, v[19:20]
	v_add_u32_e32 v21, v17, v106
	v_add_co_u32_e32 v19, vcc, s12, v19
	v_addc_co_u32_e32 v20, vcc, v22, v20, vcc
	v_ashrrev_i32_e32 v22, 31, v21
	v_lshlrev_b64 v[21:22], 3, v[21:22]
	v_mov_b32_e32 v32, s13
	v_add_co_u32_e32 v21, vcc, s12, v21
	v_addc_co_u32_e32 v22, vcc, v23, v22, vcc
	v_add_u32_e32 v23, v17, v107
	v_ashrrev_i32_e32 v24, 31, v23
	v_lshlrev_b64 v[23:24], 3, v[23:24]
	v_mov_b32_e32 v33, s13
	v_add_co_u32_e32 v23, vcc, s12, v23
	v_addc_co_u32_e32 v24, vcc, v25, v24, vcc
	v_add_u32_e32 v25, v31, v108
	v_ashrrev_i32_e32 v26, 31, v25
	v_lshlrev_b64 v[25:26], 3, v[25:26]
	v_add_u32_e32 v37, -1, v18
	v_add_co_u32_e32 v25, vcc, s12, v25
	v_addc_co_u32_e32 v26, vcc, v27, v26, vcc
	v_add_u32_e32 v27, v31, v109
	v_ashrrev_i32_e32 v28, 31, v27
	v_lshlrev_b64 v[27:28], 3, v[27:28]
	v_sub_u32_e32 v18, 1, v18
	v_add_co_u32_e32 v27, vcc, s12, v27
	v_addc_co_u32_e32 v28, vcc, v29, v28, vcc
	v_add_u32_e32 v29, v31, v110
	v_ashrrev_i32_e32 v30, 31, v29
	v_lshlrev_b64 v[29:30], 3, v[29:30]
	v_add_u32_e32 v31, v31, v111
	v_add_co_u32_e32 v29, vcc, s12, v29
	v_addc_co_u32_e32 v30, vcc, v32, v30, vcc
	v_ashrrev_i32_e32 v32, 31, v31
	v_lshlrev_b64 v[31:32], 3, v[31:32]
	v_max_i32_e32 v18, v37, v18
	v_add_co_u32_e32 v31, vcc, s12, v31
	v_addc_co_u32_e32 v32, vcc, v33, v32, vcc
	v_add_u32_e32 v33, v112, v17
	v_ashrrev_i32_e32 v34, 31, v33
	v_lshlrev_b64 v[33:34], 3, v[33:34]
	v_mul_hi_u32 v38, v18, v93
	v_mov_b32_e32 v35, s13
	v_add_co_u32_e32 v33, vcc, s12, v33
	v_addc_co_u32_e32 v34, vcc, v35, v34, vcc
	v_add_u32_e32 v35, v113, v17
	v_ashrrev_i32_e32 v36, 31, v35
	v_mul_lo_u32 v38, v38, s2
	v_lshlrev_b64 v[35:36], 3, v[35:36]
	v_mov_b32_e32 v39, s13
	v_add_co_u32_e32 v53, vcc, s12, v35
	v_addc_co_u32_e32 v54, vcc, v39, v36, vcc
	v_sub_u32_e32 v18, v18, v38
	v_subrev_u32_e32 v36, s2, v18
	v_cmp_le_u32_e32 vcc, s2, v18
	v_cndmask_b32_e32 v18, v18, v36, vcc
	v_subrev_u32_e32 v36, s2, v18
	v_cmp_le_u32_e32 vcc, s2, v18
	v_ashrrev_i32_e32 v35, 31, v37
	v_cndmask_b32_e32 v18, v18, v36, vcc
	v_xor_b32_e32 v18, v18, v35
	v_sub_u32_e32 v18, v18, v35
	v_add_u32_e32 v35, v18, v105
	v_ashrrev_i32_e32 v36, 31, v35
	v_lshlrev_b64 v[35:36], 3, v[35:36]
	v_mov_b32_e32 v37, s13
	v_add_co_u32_e32 v55, vcc, s12, v35
	v_add_u32_e32 v35, v17, v114
	v_addc_co_u32_e32 v56, vcc, v37, v36, vcc
	v_ashrrev_i32_e32 v36, 31, v35
	v_lshlrev_b64 v[35:36], 3, v[35:36]
	v_lshlrev_b64 v[49:50], 3, v[15:16]
	v_add_co_u32_e32 v57, vcc, s12, v35
	v_add_u32_e32 v35, v17, v121
	v_addc_co_u32_e32 v58, vcc, v37, v36, vcc
	v_ashrrev_i32_e32 v36, 31, v35
	v_lshlrev_b64 v[35:36], 3, v[35:36]
	v_add_co_u32_e32 v63, vcc, s12, v35
	v_add_u32_e32 v35, v18, v115
	v_addc_co_u32_e32 v64, vcc, v37, v36, vcc
	v_ashrrev_i32_e32 v36, 31, v35
	;; [unrolled: 5-line block ×5, first 2 shown]
	v_lshlrev_b64 v[35:36], 3, v[35:36]
	v_mov_b32_e32 v18, s13
	v_add_co_u32_e32 v71, vcc, s12, v35
	v_add_u32_e32 v35, v119, v17
	v_addc_co_u32_e32 v72, vcc, v18, v36, vcc
	v_ashrrev_i32_e32 v36, 31, v35
	v_lshlrev_b64 v[35:36], 3, v[35:36]
	v_add_u32_e32 v17, v120, v17
	v_add_co_u32_e32 v73, vcc, s12, v35
	v_addc_co_u32_e32 v74, vcc, v18, v36, vcc
	v_ashrrev_i32_e32 v18, 31, v17
	v_lshlrev_b64 v[17:18], 3, v[17:18]
	v_mov_b32_e32 v35, s13
	v_add_co_u32_e32 v17, vcc, s12, v17
	v_addc_co_u32_e32 v18, vcc, v35, v18, vcc
	v_mov_b32_e32 v36, s29
	v_add_co_u32_e32 v35, vcc, s28, v15
	v_addc_co_u32_e32 v36, vcc, v36, v16, vcc
	global_load_ubyte v62, v[35:36], off
	v_mov_b32_e32 v35, s13
	v_add_co_u32_e32 v59, vcc, s12, v49
	v_addc_co_u32_e32 v60, vcc, v35, v50, vcc
	global_load_dwordx2 v[51:52], v[19:20], off
	global_load_dwordx2 v[47:48], v[21:22], off
	;; [unrolled: 1-line block ×8, first 2 shown]
	s_nop 0
	global_load_dwordx2 v[33:34], v[53:54], off
	global_load_dwordx2 v[31:32], v[55:56], off
	;; [unrolled: 1-line block ×3, first 2 shown]
	s_nop 0
	global_load_dwordx2 v[57:58], v[63:64], off
	global_load_dwordx2 v[25:26], v[65:66], off
	;; [unrolled: 1-line block ×6, first 2 shown]
	s_nop 0
	global_load_dwordx2 v[17:18], v[17:18], off
	s_nop 0
	global_load_dwordx2 v[53:54], v[59:60], off
	v_and_b32_sdwa v63, sext(v61), v94 dst_sel:DWORD dst_unused:UNUSED_PAD src0_sel:BYTE_0 src1_sel:DWORD
	v_lshlrev_b64 v[55:56], 2, v[15:16]
	v_cmp_eq_u16_e32 vcc, 2, v63
	s_and_saveexec_b64 s[4:5], vcc
	s_cbranch_execz .LBB3_55
; %bb.18:                               ;   in Loop: Header=BB3_12 Depth=3
	v_mov_b32_e32 v16, s19
	v_add_co_u32_e32 v63, vcc, s18, v55
	v_addc_co_u32_e32 v64, vcc, v16, v56, vcc
	global_load_dword v16, v[63:64], off
	s_waitcnt vmcnt(0)
	v_and_b32_e32 v63, 2, v16
	v_cmp_ne_u32_e32 vcc, 0, v63
	s_and_saveexec_b64 s[0:1], vcc
	s_cbranch_execz .LBB3_20
; %bb.19:                               ;   in Loop: Header=BB3_12 Depth=3
	v_mov_b32_e32 v52, s57
	v_add_co_u32_e32 v51, vcc, s56, v59
	v_addc_co_u32_e32 v52, vcc, v60, v52, vcc
	global_load_dwordx2 v[51:52], v[51:52], off
.LBB3_20:                               ;   in Loop: Header=BB3_12 Depth=3
	s_or_b64 exec, exec, s[0:1]
	v_and_b32_e32 v63, 4, v16
	v_cmp_ne_u32_e32 vcc, 0, v63
	s_and_saveexec_b64 s[0:1], vcc
	s_cbranch_execz .LBB3_22
; %bb.21:                               ;   in Loop: Header=BB3_12 Depth=3
	v_readlane_b32 s6, v139, 14
	v_readlane_b32 s7, v139, 15
	s_lshl_b64 s[6:7], s[6:7], 3
	v_mov_b32_e32 v48, s7
	v_add_co_u32_e32 v47, vcc, s6, v59
	v_addc_co_u32_e32 v48, vcc, v60, v48, vcc
	global_load_dwordx2 v[47:48], v[47:48], off
.LBB3_22:                               ;   in Loop: Header=BB3_12 Depth=3
	s_or_b64 exec, exec, s[0:1]
	v_and_b32_e32 v63, 8, v16
	v_cmp_ne_u32_e32 vcc, 0, v63
	s_and_saveexec_b64 s[0:1], vcc
	s_cbranch_execz .LBB3_24
; %bb.23:                               ;   in Loop: Header=BB3_12 Depth=3
	v_readlane_b32 s6, v139, 16
	v_readlane_b32 s7, v139, 17
	s_lshl_b64 s[6:7], s[6:7], 3
	v_mov_b32_e32 v46, s7
	v_add_co_u32_e32 v45, vcc, s6, v59
	v_addc_co_u32_e32 v46, vcc, v60, v46, vcc
	global_load_dwordx2 v[45:46], v[45:46], off
.LBB3_24:                               ;   in Loop: Header=BB3_12 Depth=3
	s_or_b64 exec, exec, s[0:1]
	v_and_b32_e32 v63, 16, v16
	v_cmp_ne_u32_e32 vcc, 0, v63
	s_and_saveexec_b64 s[0:1], vcc
	s_cbranch_execz .LBB3_26
; %bb.25:                               ;   in Loop: Header=BB3_12 Depth=3
	v_mov_b32_e32 v44, s59
	v_add_co_u32_e32 v43, vcc, s58, v59
	v_addc_co_u32_e32 v44, vcc, v60, v44, vcc
	global_load_dwordx2 v[43:44], v[43:44], off
.LBB3_26:                               ;   in Loop: Header=BB3_12 Depth=3
	s_or_b64 exec, exec, s[0:1]
	v_and_b32_e32 v63, 32, v16
	v_cmp_ne_u32_e32 vcc, 0, v63
	s_and_saveexec_b64 s[0:1], vcc
	s_cbranch_execz .LBB3_28
; %bb.27:                               ;   in Loop: Header=BB3_12 Depth=3
	v_mov_b32_e32 v42, s61
	v_add_co_u32_e32 v41, vcc, s60, v59
	v_addc_co_u32_e32 v42, vcc, v60, v42, vcc
	global_load_dwordx2 v[41:42], v[41:42], off
.LBB3_28:                               ;   in Loop: Header=BB3_12 Depth=3
	;; [unrolled: 11-line block ×7, first 2 shown]
	s_or_b64 exec, exec, s[0:1]
	v_and_b32_e32 v63, 0x800, v16
	v_cmp_ne_u32_e32 vcc, 0, v63
	s_and_saveexec_b64 s[0:1], vcc
	s_cbranch_execz .LBB3_40
; %bb.39:                               ;   in Loop: Header=BB3_12 Depth=3
	s_lshl_b64 s[6:7], s[44:45], 3
	v_mov_b32_e32 v28, s7
	v_add_co_u32_e32 v27, vcc, s6, v59
	v_addc_co_u32_e32 v28, vcc, v60, v28, vcc
	global_load_dwordx2 v[27:28], v[27:28], off
.LBB3_40:                               ;   in Loop: Header=BB3_12 Depth=3
	s_or_b64 exec, exec, s[0:1]
	v_and_b32_e32 v63, 0x1000, v16
	v_cmp_ne_u32_e32 vcc, 0, v63
	s_and_saveexec_b64 s[0:1], vcc
	s_cbranch_execz .LBB3_42
; %bb.41:                               ;   in Loop: Header=BB3_12 Depth=3
	s_lshl_b64 s[6:7], s[46:47], 3
	v_mov_b32_e32 v58, s7
	v_add_co_u32_e32 v57, vcc, s6, v59
	v_addc_co_u32_e32 v58, vcc, v60, v58, vcc
	global_load_dwordx2 v[57:58], v[57:58], off
.LBB3_42:                               ;   in Loop: Header=BB3_12 Depth=3
	;; [unrolled: 12-line block ×6, first 2 shown]
	s_or_b64 exec, exec, s[0:1]
	v_and_b32_e32 v63, 0x20000, v16
	v_cmp_ne_u32_e32 vcc, 0, v63
	s_and_saveexec_b64 s[0:1], vcc
	s_cbranch_execz .LBB3_52
; %bb.51:                               ;   in Loop: Header=BB3_12 Depth=3
	v_mov_b32_e32 v30, s73
	v_add_co_u32_e32 v29, vcc, s72, v59
	v_addc_co_u32_e32 v30, vcc, v60, v30, vcc
	global_load_dwordx2 v[29:30], v[29:30], off
.LBB3_52:                               ;   in Loop: Header=BB3_12 Depth=3
	s_or_b64 exec, exec, s[0:1]
	v_and_b32_e32 v16, 0x40000, v16
	v_cmp_ne_u32_e32 vcc, 0, v16
	s_and_saveexec_b64 s[0:1], vcc
	s_cbranch_execz .LBB3_54
; %bb.53:                               ;   in Loop: Header=BB3_12 Depth=3
	v_mov_b32_e32 v17, s75
	v_add_co_u32_e32 v16, vcc, s74, v59
	v_addc_co_u32_e32 v17, vcc, v60, v17, vcc
	global_load_dwordx2 v[17:18], v[16:17], off
.LBB3_54:                               ;   in Loop: Header=BB3_12 Depth=3
	s_or_b64 exec, exec, s[0:1]
.LBB3_55:                               ;   in Loop: Header=BB3_12 Depth=3
	s_or_b64 exec, exec, s[4:5]
	v_cmp_eq_u16_sdwa s[0:1], sext(v61), v95 src0_sel:BYTE_0 src1_sel:DWORD
	s_and_saveexec_b64 s[88:89], s[0:1]
	s_cbranch_execz .LBB3_79
; %bb.56:                               ;   in Loop: Header=BB3_12 Depth=3
	s_waitcnt vmcnt(19)
	v_and_b32_e32 v16, 0xff, v62
	v_cmp_lt_i16_e32 vcc, 2, v16
	s_mov_b64 s[0:1], 0
	s_and_saveexec_b64 s[4:5], vcc
	s_xor_b64 s[4:5], exec, s[4:5]
	s_cbranch_execnz .LBB3_83
; %bb.57:                               ;   in Loop: Header=BB3_12 Depth=3
	s_or_saveexec_b64 s[6:7], s[4:5]
	v_cmp_eq_u16_e32 vcc, 1, v16
	s_xor_b64 exec, exec, s[6:7]
	s_cbranch_execnz .LBB3_84
.LBB3_58:                               ;   in Loop: Header=BB3_12 Depth=3
	s_or_b64 exec, exec, s[6:7]
	s_and_saveexec_b64 s[4:5], s[0:1]
	s_cbranch_execz .LBB3_60
.LBB3_59:                               ;   in Loop: Header=BB3_12 Depth=3
	s_waitcnt vmcnt(0)
	v_add_f64 v[43:44], v[3:4], v[43:44]
.LBB3_60:                               ;   in Loop: Header=BB3_12 Depth=3
	s_or_b64 exec, exec, s[4:5]
	v_cmp_lt_i16_e64 s[4:5], 3, v16
	s_mov_b64 s[6:7], 0
	s_mov_b64 s[10:11], 0
	s_and_saveexec_b64 s[0:1], s[4:5]
	s_xor_b64 s[0:1], exec, s[0:1]
	s_cbranch_execnz .LBB3_87
; %bb.61:                               ;   in Loop: Header=BB3_12 Depth=3
	s_andn2_saveexec_b64 s[0:1], s[0:1]
	s_cbranch_execnz .LBB3_90
.LBB3_62:                               ;   in Loop: Header=BB3_12 Depth=3
	s_or_b64 exec, exec, s[0:1]
	s_and_saveexec_b64 s[0:1], s[6:7]
	s_cbranch_execnz .LBB3_91
.LBB3_63:                               ;   in Loop: Header=BB3_12 Depth=3
	s_or_b64 exec, exec, s[0:1]
	s_and_saveexec_b64 s[0:1], s[10:11]
	s_cbranch_execz .LBB3_65
.LBB3_64:                               ;   in Loop: Header=BB3_12 Depth=3
	s_waitcnt vmcnt(0)
	v_add_f64 v[37:38], v[3:4], v[37:38]
.LBB3_65:                               ;   in Loop: Header=BB3_12 Depth=3
	s_or_b64 exec, exec, s[0:1]
	v_add_u16_e32 v59, -3, v62
	v_cmp_lt_u16_sdwa vcc, v59, v95 src0_sel:BYTE_0 src1_sel:DWORD
	v_add_u16_e32 v59, -1, v62
	v_cmp_lt_u16_sdwa s[4:5], v59, v95 src0_sel:BYTE_0 src1_sel:DWORD
	v_cmp_lt_i16_e64 s[10:11], 2, v16
	s_mov_b64 s[92:93], 0
	s_mov_b64 s[6:7], 0
	;; [unrolled: 1-line block ×4, first 2 shown]
                                        ; implicit-def: $vgpr59_vgpr60
	s_and_saveexec_b64 s[0:1], s[10:11]
	s_xor_b64 s[36:37], exec, s[0:1]
	s_cbranch_execnz .LBB3_96
; %bb.66:                               ;   in Loop: Header=BB3_12 Depth=3
	s_andn2_saveexec_b64 s[36:37], s[36:37]
	s_cbranch_execnz .LBB3_103
.LBB3_67:                               ;   in Loop: Header=BB3_12 Depth=3
	s_or_b64 exec, exec, s[36:37]
	s_and_saveexec_b64 s[0:1], s[6:7]
	s_cbranch_execz .LBB3_69
.LBB3_68:                               ;   in Loop: Header=BB3_12 Depth=3
	s_waitcnt vmcnt(0)
	v_add_f64 v[21:22], v[9:10], v[21:22]
	v_cmp_eq_u16_sdwa s[6:7], v62, v99 src0_sel:BYTE_0 src1_sel:DWORD
	s_andn2_b64 s[10:11], s[94:95], exec
	s_and_b64 s[6:7], s[6:7], exec
	v_mov_b32_e32 v60, v58
	s_or_b64 s[94:95], s[10:11], s[6:7]
	v_mov_b32_e32 v59, v57
.LBB3_69:                               ;   in Loop: Header=BB3_12 Depth=3
	s_or_b64 exec, exec, s[0:1]
	s_mov_b64 s[30:31], 0
	s_mov_b64 s[36:37], 0
	s_and_saveexec_b64 s[0:1], s[94:95]
	s_cbranch_execz .LBB3_73
; %bb.70:                               ;   in Loop: Header=BB3_12 Depth=3
	v_cmp_lt_i16_e64 s[10:11], 3, v16
	s_mov_b64 s[6:7], -1
	s_mov_b64 s[94:95], s[92:93]
	s_and_saveexec_b64 s[36:37], s[10:11]
; %bb.71:                               ;   in Loop: Header=BB3_12 Depth=3
	v_cmp_eq_u16_e64 s[10:11], 4, v16
	s_andn2_b64 s[78:79], s[92:93], exec
	s_and_b64 s[10:11], s[10:11], exec
	s_xor_b64 s[6:7], exec, -1
	s_or_b64 s[94:95], s[78:79], s[10:11]
; %bb.72:                               ;   in Loop: Header=BB3_12 Depth=3
	s_or_b64 exec, exec, s[36:37]
	s_waitcnt vmcnt(0)
	v_add_f64 v[13:14], v[7:8], v[23:24]
	s_and_b64 s[36:37], s[6:7], exec
	s_andn2_b64 s[6:7], s[92:93], exec
	s_and_b64 s[10:11], s[94:95], exec
	s_or_b64 s[92:93], s[6:7], s[10:11]
	v_mov_b32_e32 v100, v16
	v_mov_b32_e32 v24, v14
	v_mov_b32_e32 v23, v13
.LBB3_73:                               ;   in Loop: Header=BB3_12 Depth=3
	s_or_b64 exec, exec, s[0:1]
	s_waitcnt vmcnt(0)
	v_mov_b32_e32 v58, v30
	v_mov_b32_e32 v57, v29
	s_and_saveexec_b64 s[0:1], s[92:93]
	s_cbranch_execnz .LBB3_116
; %bb.74:                               ;   in Loop: Header=BB3_12 Depth=3
	s_or_b64 exec, exec, s[0:1]
	s_and_saveexec_b64 s[0:1], s[36:37]
	s_cbranch_execnz .LBB3_117
.LBB3_75:                               ;   in Loop: Header=BB3_12 Depth=3
	s_or_b64 exec, exec, s[0:1]
	s_and_saveexec_b64 s[0:1], s[90:91]
	s_cbranch_execnz .LBB3_118
.LBB3_76:                               ;   in Loop: Header=BB3_12 Depth=3
	s_or_b64 exec, exec, s[0:1]
	s_and_saveexec_b64 s[0:1], s[30:31]
.LBB3_77:                               ;   in Loop: Header=BB3_12 Depth=3
	v_add_f64 v[17:18], v[17:18], 0
.LBB3_78:                               ;   in Loop: Header=BB3_12 Depth=3
	s_or_b64 exec, exec, s[0:1]
	v_add_f64 v[62:63], v[33:34], 0
	v_add_f64 v[64:65], v[3:4], v[41:42]
	v_mov_b32_e32 v29, v57
	v_mov_b32_e32 v30, v58
	;; [unrolled: 1-line block ×4, first 2 shown]
	v_cndmask_b32_e32 v34, v34, v63, vcc
	v_cndmask_b32_e32 v33, v33, v62, vcc
	v_cndmask_b32_e64 v42, v42, v65, s[4:5]
	v_cndmask_b32_e64 v41, v41, v64, s[4:5]
.LBB3_79:                               ;   in Loop: Header=BB3_12 Depth=3
	s_or_b64 exec, exec, s[88:89]
	s_waitcnt vmcnt(0)
	v_add_f64 v[59:60], v[53:54], v[47:48]
	v_add_f64 v[62:63], v[51:52], v[43:44]
	;; [unrolled: 1-line block ×6, first 2 shown]
	v_cmp_lt_i16_sdwa s[4:5], sext(v61), v97 src0_sel:BYTE_0 src1_sel:DWORD
	v_add_f64 v[59:60], v[59:60], v[45:46]
	v_add_f64 v[62:63], v[62:63], v[41:42]
	;; [unrolled: 1-line block ×14, first 2 shown]
	v_add_f64 v[62:63], v[64:65], -v[62:63]
	v_add_f64 v[59:60], v[59:60], v[57:58]
	v_add_f64 v[59:60], v[59:60], v[29:30]
	;; [unrolled: 1-line block ×4, first 2 shown]
	v_div_scale_f64 v[66:67], s[0:1], v[59:60], v[59:60], 1.0
	v_rcp_f64_e32 v[68:69], v[66:67]
	v_fma_f64 v[70:71], -v[66:67], v[68:69], 1.0
	v_fma_f64 v[68:69], v[68:69], v[70:71], v[68:69]
	v_div_scale_f64 v[70:71], vcc, 1.0, v[59:60], 1.0
	v_fma_f64 v[72:73], -v[66:67], v[68:69], 1.0
	v_fma_f64 v[68:69], v[68:69], v[72:73], v[68:69]
	v_add_f64 v[72:73], v[43:44], v[47:48]
	v_mul_f64 v[76:77], v[70:71], v[68:69]
	v_add_f64 v[72:73], v[72:73], v[35:36]
	v_fma_f64 v[66:67], -v[66:67], v[76:77], v[70:71]
	v_add_f64 v[70:71], v[78:79], v[35:36]
	v_add_f64 v[78:79], v[80:81], v[57:58]
	;; [unrolled: 1-line block ×3, first 2 shown]
	v_div_fmas_f64 v[66:67], v[66:67], v[68:69], v[76:77]
	v_add_f64 v[68:69], v[19:20], v[70:71]
	v_add_f64 v[70:71], v[23:24], v[78:79]
	v_add_f64 v[72:73], v[21:22], v[72:73]
	v_add_f64 v[68:69], v[68:69], v[17:18]
	v_add_f64 v[70:71], v[29:30], v[70:71]
	v_div_fixup_f64 v[64:65], v[66:67], v[59:60], 1.0
	v_add_f64 v[66:67], v[74:75], -v[72:73]
	v_add_f64 v[68:69], v[70:71], -v[68:69]
	v_mul_f64 v[62:63], v[62:63], v[64:65]
	v_mul_f64 v[66:67], v[66:67], v[64:65]
	;; [unrolled: 1-line block ×3, first 2 shown]
	v_cvt_f32_f64_e32 v16, v[62:63]
	v_cvt_f32_f64_e32 v123, v[66:67]
	;; [unrolled: 1-line block ×3, first 2 shown]
	s_and_saveexec_b64 s[10:11], s[4:5]
	s_cbranch_execz .LBB3_81
; %bb.80:                               ;   in Loop: Header=BB3_12 Depth=3
	v_mul_f32_e32 v61, v123, v123
	v_fmac_f32_e32 v61, v16, v16
	v_fmac_f32_e32 v61, v124, v124
	v_mul_f32_e32 v61, 0x40400000, v61
	v_cvt_f64_f32_e32 v[67:68], v61
	v_div_scale_f64 v[61:62], s[0:1], s[76:77], s[76:77], v[59:60]
	s_mov_b32 s0, 0
	s_mov_b32 s1, 0x40280000
	v_mul_f32_e32 v71, 0xc0400000, v123
	v_mul_f32_e32 v71, v71, v71
	v_cvt_f64_f32_e32 v[71:72], v71
	v_mul_f32_e32 v77, 0xc0400000, v124
	v_mul_f32_e32 v77, v77, v77
	v_cvt_f64_f32_e32 v[77:78], v77
	v_rcp_f64_e32 v[63:64], v[61:62]
	v_fma_f64 v[65:66], -v[61:62], v[63:64], 1.0
	v_fma_f64 v[63:64], v[63:64], v[65:66], v[63:64]
	v_fma_f64 v[65:66], -v[61:62], v[63:64], 1.0
	v_fma_f64 v[63:64], v[63:64], v[65:66], v[63:64]
	v_div_scale_f64 v[65:66], vcc, v[59:60], s[76:77], v[59:60]
	v_mul_f64 v[69:70], v[65:66], v[63:64]
	v_fma_f64 v[61:62], -v[61:62], v[69:70], v[65:66]
	s_nop 1
	v_div_fmas_f64 v[61:62], v[61:62], v[63:64], v[69:70]
	v_div_fixup_f64 v[73:74], v[61:62], s[76:77], v[59:60]
	v_fma_f64 v[59:60], v[67:68], -0.5, 1.0
	v_mul_f32_e32 v61, 0xc0400000, v16
	v_mul_f32_e32 v61, v61, v61
	v_cvt_f64_f32_e32 v[61:62], v61
	v_mul_f64 v[69:70], v[73:74], s[0:1]
	v_add_f64 v[65:66], v[73:74], v[73:74]
	v_mul_f64 v[63:64], v[69:70], v[59:60]
	v_fma_f32 v59, v16, s33, 1.0
	v_cvt_f64_f32_e32 v[59:60], v59
	v_fma_f64 v[59:60], v[61:62], 0.5, v[59:60]
	v_fma_f32 v61, v123, s33, 1.0
	v_cvt_f64_f32_e32 v[61:62], v61
	v_mul_f64 v[63:64], s[22:23], v[63:64]
	v_fma_f64 v[61:62], v[71:72], 0.5, v[61:62]
	v_fma_f32 v71, v124, s33, 1.0
	v_cvt_f64_f32_e32 v[71:72], v71
	v_fma_f64 v[59:60], v[67:68], -0.5, v[59:60]
	v_fma_f64 v[53:54], v[11:12], v[53:54], v[63:64]
	v_fma_f64 v[71:72], v[77:78], 0.5, v[71:72]
	v_fma_f64 v[61:62], v[67:68], -0.5, v[61:62]
	v_mul_f64 v[75:76], v[65:66], v[59:60]
	v_cvt_f64_f32_e32 v[59:60], v16
	v_fma_f64 v[71:72], v[67:68], -0.5, v[71:72]
	v_mul_f64 v[79:80], v[65:66], v[61:62]
	v_cvt_f64_f32_e32 v[61:62], v123
	v_fma_f64 v[59:60], v[69:70], v[59:60], v[75:76]
	v_mul_f64 v[63:64], s[22:23], v[75:76]
	v_mul_f64 v[83:84], v[65:66], v[71:72]
	v_cvt_f64_f32_e32 v[71:72], v124
	v_fma_f64 v[61:62], v[69:70], v[61:62], v[79:80]
	v_mul_f64 v[59:60], s[22:23], v[59:60]
	v_fma_f64 v[51:52], v[11:12], v[51:52], v[63:64]
	v_mul_f64 v[63:64], s[22:23], v[79:80]
	v_fma_f64 v[71:72], v[69:70], v[71:72], v[83:84]
	v_sub_f32_e64 v69, -v16, v123
	v_mul_f32_e32 v69, 0x40400000, v69
	v_cvt_f64_f32_e32 v[69:70], v69
	v_fma_f64 v[31:32], v[11:12], v[31:32], v[59:60]
	v_mul_f64 v[59:60], s[22:23], v[61:62]
	v_add_f64 v[77:78], v[69:70], 1.0
	v_mul_f64 v[81:82], v[69:70], v[69:70]
	v_fma_f64 v[47:48], v[11:12], v[47:48], v[63:64]
	v_mul_f64 v[63:64], s[22:23], v[83:84]
	v_fma_f64 v[27:28], v[11:12], v[27:28], v[59:60]
	v_mul_f64 v[59:60], s[22:23], v[71:72]
	v_fma_f64 v[77:78], v[81:82], 0.5, v[77:78]
	v_fma_f64 v[45:46], v[11:12], v[45:46], v[63:64]
	v_fma_f64 v[57:58], v[11:12], v[57:58], v[59:60]
	v_fma_f64 v[77:78], v[67:68], -0.5, v[77:78]
	v_mul_f64 v[87:88], v[73:74], v[77:78]
	v_sub_f32_e32 v77, v123, v16
	v_mul_f32_e32 v77, 0x40400000, v77
	v_cvt_f64_f32_e32 v[77:78], v77
	v_add_f64 v[81:82], v[77:78], 1.0
	v_mul_f64 v[85:86], v[77:78], v[77:78]
	v_fma_f64 v[69:70], -v[65:66], v[69:70], v[87:88]
	v_mul_f64 v[63:64], s[22:23], v[87:88]
	v_fma_f64 v[81:82], v[85:86], 0.5, v[81:82]
	v_mul_f64 v[59:60], s[22:23], v[69:70]
	v_fma_f64 v[43:44], v[11:12], v[43:44], v[63:64]
	v_fma_f64 v[81:82], v[67:68], -0.5, v[81:82]
	v_fma_f64 v[25:26], v[11:12], v[25:26], v[59:60]
	v_mul_f64 v[125:126], v[73:74], v[81:82]
	v_sub_f32_e64 v81, -v16, v124
	v_mul_f32_e32 v81, 0x40400000, v81
	v_cvt_f64_f32_e32 v[81:82], v81
	v_add_f64 v[85:86], v[81:82], 1.0
	v_mul_f64 v[89:90], v[81:82], v[81:82]
	v_fma_f64 v[77:78], -v[65:66], v[77:78], v[125:126]
	v_mul_f64 v[63:64], s[22:23], v[125:126]
	v_fma_f64 v[85:86], v[89:90], 0.5, v[85:86]
	v_mul_f64 v[59:60], s[22:23], v[77:78]
	v_fma_f64 v[41:42], v[11:12], v[41:42], v[63:64]
	v_fma_f64 v[85:86], v[67:68], -0.5, v[85:86]
	v_fma_f64 v[21:22], v[11:12], v[21:22], v[59:60]
	v_mul_f64 v[127:128], v[73:74], v[85:86]
	v_sub_f32_e32 v85, v124, v16
	v_mul_f32_e32 v85, 0x40400000, v85
	v_cvt_f64_f32_e32 v[85:86], v85
	v_add_f64 v[89:90], v[85:86], 1.0
	v_mul_f64 v[129:130], v[85:86], v[85:86]
	v_fma_f64 v[81:82], -v[65:66], v[81:82], v[127:128]
	v_mul_f64 v[63:64], s[22:23], v[127:128]
	v_fma_f64 v[89:90], v[129:130], 0.5, v[89:90]
	v_mul_f64 v[59:60], s[22:23], v[81:82]
	v_fma_f64 v[39:40], v[11:12], v[39:40], v[63:64]
	v_fma_f64 v[89:90], v[67:68], -0.5, v[89:90]
	v_fma_f64 v[23:24], v[11:12], v[23:24], v[59:60]
	v_mul_f64 v[129:130], v[73:74], v[89:90]
	v_sub_f32_e64 v89, -v123, v124
	v_mul_f32_e32 v89, 0x40400000, v89
	v_cvt_f64_f32_e32 v[89:90], v89
	v_add_f64 v[131:132], v[89:90], 1.0
	v_mul_f64 v[133:134], v[89:90], v[89:90]
	v_fma_f64 v[85:86], -v[65:66], v[85:86], v[129:130]
	v_mul_f64 v[63:64], s[22:23], v[129:130]
	v_fma_f64 v[131:132], v[133:134], 0.5, v[131:132]
	v_sub_f32_e32 v133, v124, v123
	v_mul_f32_e32 v133, 0x40400000, v133
	v_cvt_f64_f32_e32 v[133:134], v133
	v_mul_f64 v[59:60], s[22:23], v[85:86]
	v_fma_f64 v[37:38], v[11:12], v[37:38], v[63:64]
	v_add_f64 v[135:136], v[133:134], 1.0
	v_mul_f64 v[137:138], v[133:134], v[133:134]
	v_fma_f64 v[131:132], v[67:68], -0.5, v[131:132]
	v_fma_f64 v[19:20], v[11:12], v[19:20], v[59:60]
	v_fma_f64 v[135:136], v[137:138], 0.5, v[135:136]
	v_mul_f64 v[131:132], v[73:74], v[131:132]
	v_fma_f64 v[67:68], v[67:68], -0.5, v[135:136]
	v_fma_f64 v[89:90], -v[65:66], v[89:90], v[131:132]
	v_mul_f64 v[63:64], s[22:23], v[131:132]
	v_mul_f64 v[67:68], v[73:74], v[67:68]
	;; [unrolled: 1-line block ×3, first 2 shown]
	v_fma_f64 v[35:36], v[11:12], v[35:36], v[63:64]
	v_fma_f64 v[65:66], -v[65:66], v[133:134], v[67:68]
	v_mul_f64 v[63:64], s[22:23], v[67:68]
	v_fma_f64 v[29:30], v[11:12], v[29:30], v[59:60]
	v_mul_f64 v[59:60], s[22:23], v[65:66]
	v_fma_f64 v[33:34], v[11:12], v[33:34], v[63:64]
	v_fma_f64 v[17:18], v[11:12], v[17:18], v[59:60]
.LBB3_81:                               ;   in Loop: Header=BB3_12 Depth=3
	s_or_b64 exec, exec, s[10:11]
	s_and_b64 s[4:5], s[34:35], s[4:5]
	s_and_saveexec_b64 s[0:1], s[4:5]
	s_cbranch_execz .LBB3_10
; %bb.82:                               ;   in Loop: Header=BB3_12 Depth=3
	v_mov_b32_e32 v60, s39
	v_add_co_u32_e32 v59, vcc, s38, v55
	v_addc_co_u32_e32 v60, vcc, v60, v56, vcc
	v_mov_b32_e32 v62, s27
	v_add_co_u32_e32 v61, vcc, s26, v55
	v_addc_co_u32_e32 v62, vcc, v62, v56, vcc
	v_mov_b32_e32 v63, s25
	v_add_co_u32_e32 v55, vcc, s24, v55
	v_addc_co_u32_e32 v56, vcc, v63, v56, vcc
	global_store_dword v[55:56], v16, off
	global_store_dword v[61:62], v123, off
	;; [unrolled: 1-line block ×3, first 2 shown]
	s_branch .LBB3_10
.LBB3_83:                               ;   in Loop: Header=BB3_12 Depth=3
	v_cmp_eq_u16_e32 vcc, 3, v16
	s_and_b64 s[0:1], vcc, exec
	s_or_saveexec_b64 s[6:7], s[4:5]
	v_cmp_eq_u16_e32 vcc, 1, v16
	s_xor_b64 exec, exec, s[6:7]
	s_cbranch_execz .LBB3_58
.LBB3_84:                               ;   in Loop: Header=BB3_12 Depth=3
	v_cmp_eq_u16_e64 s[4:5], 1, v16
	s_mov_b64 s[10:11], s[0:1]
	s_and_saveexec_b64 s[30:31], s[4:5]
	s_cbranch_execz .LBB3_86
; %bb.85:                               ;   in Loop: Header=BB3_12 Depth=3
	s_waitcnt vmcnt(0)
	v_add_f64 v[51:52], v[1:2], v[51:52]
	s_or_b64 s[10:11], s[0:1], exec
.LBB3_86:                               ;   in Loop: Header=BB3_12 Depth=3
	s_or_b64 exec, exec, s[30:31]
	s_andn2_b64 s[0:1], s[0:1], exec
	s_and_b64 s[4:5], s[10:11], exec
	s_or_b64 s[0:1], s[0:1], s[4:5]
	s_or_b64 exec, exec, s[6:7]
	s_and_saveexec_b64 s[4:5], s[0:1]
	s_cbranch_execnz .LBB3_59
	s_branch .LBB3_60
.LBB3_87:                               ;   in Loop: Header=BB3_12 Depth=3
	v_cmp_lt_i16_e64 s[4:5], 4, v16
	s_mov_b64 s[10:11], -1
	s_and_saveexec_b64 s[30:31], s[4:5]
; %bb.88:                               ;   in Loop: Header=BB3_12 Depth=3
	v_cmp_eq_u16_e64 s[4:5], 5, v16
	s_xor_b64 s[10:11], exec, -1
	s_and_b64 s[6:7], s[4:5], exec
; %bb.89:                               ;   in Loop: Header=BB3_12 Depth=3
	s_or_b64 exec, exec, s[30:31]
	s_and_b64 s[10:11], s[10:11], exec
	s_and_b64 s[6:7], s[6:7], exec
	s_andn2_saveexec_b64 s[0:1], s[0:1]
	s_cbranch_execz .LBB3_62
.LBB3_90:                               ;   in Loop: Header=BB3_12 Depth=3
	s_andn2_b64 s[4:5], s[6:7], exec
	s_and_b64 s[6:7], vcc, exec
	s_or_b64 s[6:7], s[4:5], s[6:7]
	s_or_b64 exec, exec, s[0:1]
	s_and_saveexec_b64 s[0:1], s[6:7]
	s_cbranch_execz .LBB3_63
.LBB3_91:                               ;   in Loop: Header=BB3_12 Depth=3
	v_cmp_gt_i16_sdwa s[6:7], v62, v96 src0_sel:BYTE_0 src1_sel:DWORD
	s_mov_b64 s[4:5], s[10:11]
	s_and_saveexec_b64 s[30:31], s[6:7]
	s_xor_b64 s[6:7], exec, s[30:31]
; %bb.92:                               ;   in Loop: Header=BB3_12 Depth=3
	v_cmp_eq_u16_sdwa s[4:5], v62, v97 src0_sel:BYTE_0 src1_sel:DWORD
	s_andn2_b64 s[30:31], s[10:11], exec
	s_and_b64 s[4:5], s[4:5], exec
	s_or_b64 s[4:5], s[30:31], s[4:5]
; %bb.93:                               ;   in Loop: Header=BB3_12 Depth=3
	s_andn2_saveexec_b64 s[6:7], s[6:7]
; %bb.94:                               ;   in Loop: Header=BB3_12 Depth=3
	v_cmp_eq_u16_sdwa s[30:31], v62, v98 src0_sel:BYTE_0 src1_sel:DWORD
	s_andn2_b64 s[4:5], s[4:5], exec
	s_and_b64 s[30:31], s[30:31], exec
	s_or_b64 s[4:5], s[4:5], s[30:31]
; %bb.95:                               ;   in Loop: Header=BB3_12 Depth=3
	s_or_b64 exec, exec, s[6:7]
	s_andn2_b64 s[6:7], s[10:11], exec
	s_and_b64 s[4:5], s[4:5], exec
	s_waitcnt vmcnt(0)
	v_add_f64 v[39:40], v[3:4], v[39:40]
	s_or_b64 s[10:11], s[6:7], s[4:5]
	s_or_b64 exec, exec, s[0:1]
	s_and_saveexec_b64 s[0:1], s[10:11]
	s_cbranch_execnz .LBB3_64
	s_branch .LBB3_65
.LBB3_96:                               ;   in Loop: Header=BB3_12 Depth=3
	v_cmp_lt_i16_e64 s[10:11], 3, v16
	s_mov_b64 s[6:7], -1
	s_mov_b64 s[30:31], 0
                                        ; implicit-def: $vgpr59_vgpr60
	s_and_saveexec_b64 s[0:1], s[10:11]
	s_cbranch_execz .LBB3_102
; %bb.97:                               ;   in Loop: Header=BB3_12 Depth=3
	v_cmp_lt_i16_e64 s[10:11], 4, v16
	s_mov_b64 s[6:7], 0
	s_and_saveexec_b64 s[78:79], s[10:11]
	s_xor_b64 s[78:79], exec, s[78:79]
; %bb.98:                               ;   in Loop: Header=BB3_12 Depth=3
	v_cmp_eq_u16_e64 s[10:11], 5, v16
	s_and_b64 s[30:31], s[10:11], exec
; %bb.99:                               ;   in Loop: Header=BB3_12 Depth=3
	s_or_saveexec_b64 s[10:11], s[78:79]
	s_waitcnt vmcnt(0)
	v_mov_b32_e32 v60, v58
	v_mov_b32_e32 v59, v57
	s_xor_b64 exec, exec, s[10:11]
; %bb.100:                              ;   in Loop: Header=BB3_12 Depth=3
	v_add_f64 v[59:60], v[57:58], 0
	s_mov_b64 s[6:7], exec
; %bb.101:                              ;   in Loop: Header=BB3_12 Depth=3
	s_or_b64 exec, exec, s[10:11]
	s_and_b64 s[90:91], s[30:31], exec
	s_and_b64 s[30:31], s[6:7], exec
	s_xor_b64 s[6:7], exec, -1
.LBB3_102:                              ;   in Loop: Header=BB3_12 Depth=3
	s_or_b64 exec, exec, s[0:1]
	s_and_b64 s[90:91], s[90:91], exec
	s_and_b64 s[94:95], s[30:31], exec
	;; [unrolled: 1-line block ×3, first 2 shown]
	s_andn2_saveexec_b64 s[36:37], s[36:37]
	s_cbranch_execz .LBB3_67
.LBB3_103:                              ;   in Loop: Header=BB3_12 Depth=3
	v_cmp_lt_i16_e64 s[10:11], 1, v16
	s_and_saveexec_b64 s[0:1], s[10:11]
	s_xor_b64 s[0:1], exec, s[0:1]
	s_cbranch_execz .LBB3_105
; %bb.104:                              ;   in Loop: Header=BB3_12 Depth=3
	s_mov_b64 s[92:93], exec
	s_waitcnt vmcnt(0)
	v_add_f64 v[27:28], v[27:28], 0
.LBB3_105:                              ;   in Loop: Header=BB3_12 Depth=3
	s_andn2_saveexec_b64 s[0:1], s[0:1]
	s_cbranch_execz .LBB3_109
; %bb.106:                              ;   in Loop: Header=BB3_12 Depth=3
	v_cmp_eq_u16_e64 s[10:11], 0, v16
	s_mov_b64 s[30:31], s[92:93]
	s_and_saveexec_b64 s[78:79], s[10:11]
	s_cbranch_execz .LBB3_108
; %bb.107:                              ;   in Loop: Header=BB3_12 Depth=3
	s_waitcnt vmcnt(0)
	v_add_f64 v[31:32], v[5:6], v[31:32]
	s_or_b64 s[30:31], s[92:93], exec
.LBB3_108:                              ;   in Loop: Header=BB3_12 Depth=3
	s_or_b64 exec, exec, s[78:79]
	s_andn2_b64 s[10:11], s[92:93], exec
	s_and_b64 s[30:31], s[30:31], exec
	s_or_b64 s[92:93], s[10:11], s[30:31]
.LBB3_109:                              ;   in Loop: Header=BB3_12 Depth=3
	s_or_b64 exec, exec, s[0:1]
	s_mov_b64 s[0:1], 0
	s_mov_b64 s[30:31], s[6:7]
	s_and_saveexec_b64 s[10:11], s[92:93]
	s_cbranch_execz .LBB3_115
; %bb.110:                              ;   in Loop: Header=BB3_12 Depth=3
	v_cmp_gt_i16_sdwa s[30:31], v62, v98 src0_sel:BYTE_0 src1_sel:DWORD
	s_and_saveexec_b64 s[78:79], s[30:31]
	s_xor_b64 s[30:31], exec, s[78:79]
; %bb.111:                              ;   in Loop: Header=BB3_12 Depth=3
	v_cmp_eq_u16_sdwa s[0:1], v62, v95 src0_sel:BYTE_0 src1_sel:DWORD
	s_and_b64 s[0:1], s[0:1], exec
; %bb.112:                              ;   in Loop: Header=BB3_12 Depth=3
	s_or_saveexec_b64 s[30:31], s[30:31]
	s_mov_b64 s[92:93], s[6:7]
	s_xor_b64 exec, exec, s[30:31]
; %bb.113:                              ;   in Loop: Header=BB3_12 Depth=3
	v_cmp_eq_u16_sdwa s[78:79], v62, v99 src0_sel:BYTE_0 src1_sel:DWORD
	s_andn2_b64 s[92:93], s[6:7], exec
	s_and_b64 s[78:79], s[78:79], exec
	s_or_b64 s[92:93], s[92:93], s[78:79]
; %bb.114:                              ;   in Loop: Header=BB3_12 Depth=3
	s_or_b64 exec, exec, s[30:31]
	s_andn2_b64 s[30:31], s[6:7], exec
	s_and_b64 s[78:79], s[92:93], exec
	s_waitcnt vmcnt(0)
	v_add_f64 v[25:26], v[7:8], v[25:26]
	s_and_b64 s[0:1], s[0:1], exec
	s_or_b64 s[30:31], s[30:31], s[78:79]
.LBB3_115:                              ;   in Loop: Header=BB3_12 Depth=3
	s_or_b64 exec, exec, s[10:11]
	s_and_b64 s[92:93], s[0:1], exec
	s_andn2_b64 s[0:1], s[6:7], exec
	s_and_b64 s[6:7], s[30:31], exec
	s_waitcnt vmcnt(0)
	v_mov_b32_e32 v60, v58
	s_or_b64 s[6:7], s[0:1], s[6:7]
	v_mov_b32_e32 v59, v57
	s_or_b64 exec, exec, s[36:37]
	s_and_saveexec_b64 s[0:1], s[6:7]
	s_cbranch_execnz .LBB3_68
	s_branch .LBB3_69
.LBB3_116:                              ;   in Loop: Header=BB3_12 Depth=3
	v_cmp_eq_u16_e64 s[10:11], 2, v16
	v_add_f64 v[57:58], v[29:30], 0
	s_and_b64 s[30:31], s[10:11], exec
	s_or_b64 exec, exec, s[0:1]
	s_and_saveexec_b64 s[0:1], s[36:37]
	s_cbranch_execz .LBB3_75
.LBB3_117:                              ;   in Loop: Header=BB3_12 Depth=3
	v_cmp_eq_u16_e64 s[10:11], 0, v100
	s_andn2_b64 s[6:7], s[90:91], exec
	s_and_b64 s[10:11], s[10:11], exec
	v_mov_b32_e32 v58, v30
	v_mov_b32_e32 v24, v14
	s_or_b64 s[90:91], s[6:7], s[10:11]
	v_mov_b32_e32 v57, v29
	v_mov_b32_e32 v23, v13
	s_or_b64 exec, exec, s[0:1]
	s_and_saveexec_b64 s[0:1], s[90:91]
	s_cbranch_execz .LBB3_76
.LBB3_118:                              ;   in Loop: Header=BB3_12 Depth=3
	v_add_f64 v[19:20], v[9:10], v[19:20]
	v_cmp_eq_u16_e64 s[10:11], 5, v16
	s_andn2_b64 s[6:7], s[30:31], exec
	s_and_b64 s[10:11], s[10:11], exec
	v_mov_b32_e32 v58, v30
	s_or_b64 s[30:31], s[6:7], s[10:11]
	v_mov_b32_e32 v57, v29
	s_or_b64 exec, exec, s[0:1]
	s_and_saveexec_b64 s[0:1], s[30:31]
	s_cbranch_execnz .LBB3_77
	s_branch .LBB3_78
.LBB3_119:
	s_endpgm
	.section	.rodata,"a",@progbits
	.p2align	6, 0x0
	.amdhsa_kernel _Z20collide_and_stream_gIL12lattice_type19EEv8lbm_vars5BoxCUddbi
		.amdhsa_group_segment_fixed_size 0
		.amdhsa_private_segment_fixed_size 0
		.amdhsa_kernarg_size 424
		.amdhsa_user_sgpr_count 6
		.amdhsa_user_sgpr_private_segment_buffer 1
		.amdhsa_user_sgpr_dispatch_ptr 0
		.amdhsa_user_sgpr_queue_ptr 0
		.amdhsa_user_sgpr_kernarg_segment_ptr 1
		.amdhsa_user_sgpr_dispatch_id 0
		.amdhsa_user_sgpr_flat_scratch_init 0
		.amdhsa_user_sgpr_private_segment_size 0
		.amdhsa_uses_dynamic_stack 0
		.amdhsa_system_sgpr_private_segment_wavefront_offset 0
		.amdhsa_system_sgpr_workgroup_id_x 1
		.amdhsa_system_sgpr_workgroup_id_y 1
		.amdhsa_system_sgpr_workgroup_id_z 1
		.amdhsa_system_sgpr_workgroup_info 0
		.amdhsa_system_vgpr_workitem_id 1
		.amdhsa_next_free_vgpr 140
		.amdhsa_next_free_sgpr 96
		.amdhsa_reserve_vcc 1
		.amdhsa_reserve_flat_scratch 0
		.amdhsa_float_round_mode_32 0
		.amdhsa_float_round_mode_16_64 0
		.amdhsa_float_denorm_mode_32 3
		.amdhsa_float_denorm_mode_16_64 3
		.amdhsa_dx10_clamp 1
		.amdhsa_ieee_mode 1
		.amdhsa_fp16_overflow 0
		.amdhsa_exception_fp_ieee_invalid_op 0
		.amdhsa_exception_fp_denorm_src 0
		.amdhsa_exception_fp_ieee_div_zero 0
		.amdhsa_exception_fp_ieee_overflow 0
		.amdhsa_exception_fp_ieee_underflow 0
		.amdhsa_exception_fp_ieee_inexact 0
		.amdhsa_exception_int_div_zero 0
	.end_amdhsa_kernel
	.section	.text._Z20collide_and_stream_gIL12lattice_type19EEv8lbm_vars5BoxCUddbi,"axG",@progbits,_Z20collide_and_stream_gIL12lattice_type19EEv8lbm_vars5BoxCUddbi,comdat
.Lfunc_end3:
	.size	_Z20collide_and_stream_gIL12lattice_type19EEv8lbm_vars5BoxCUddbi, .Lfunc_end3-_Z20collide_and_stream_gIL12lattice_type19EEv8lbm_vars5BoxCUddbi
                                        ; -- End function
	.set _Z20collide_and_stream_gIL12lattice_type19EEv8lbm_vars5BoxCUddbi.num_vgpr, 140
	.set _Z20collide_and_stream_gIL12lattice_type19EEv8lbm_vars5BoxCUddbi.num_agpr, 0
	.set _Z20collide_and_stream_gIL12lattice_type19EEv8lbm_vars5BoxCUddbi.numbered_sgpr, 96
	.set _Z20collide_and_stream_gIL12lattice_type19EEv8lbm_vars5BoxCUddbi.num_named_barrier, 0
	.set _Z20collide_and_stream_gIL12lattice_type19EEv8lbm_vars5BoxCUddbi.private_seg_size, 0
	.set _Z20collide_and_stream_gIL12lattice_type19EEv8lbm_vars5BoxCUddbi.uses_vcc, 1
	.set _Z20collide_and_stream_gIL12lattice_type19EEv8lbm_vars5BoxCUddbi.uses_flat_scratch, 0
	.set _Z20collide_and_stream_gIL12lattice_type19EEv8lbm_vars5BoxCUddbi.has_dyn_sized_stack, 0
	.set _Z20collide_and_stream_gIL12lattice_type19EEv8lbm_vars5BoxCUddbi.has_recursion, 0
	.set _Z20collide_and_stream_gIL12lattice_type19EEv8lbm_vars5BoxCUddbi.has_indirect_call, 0
	.section	.AMDGPU.csdata,"",@progbits
; Kernel info:
; codeLenInByte = 7500
; TotalNumSgprs: 100
; NumVgprs: 140
; ScratchSize: 0
; MemoryBound: 0
; FloatMode: 240
; IeeeMode: 1
; LDSByteSize: 0 bytes/workgroup (compile time only)
; SGPRBlocks: 12
; VGPRBlocks: 34
; NumSGPRsForWavesPerEU: 100
; NumVGPRsForWavesPerEU: 140
; Occupancy: 1
; WaveLimiterHint : 1
; COMPUTE_PGM_RSRC2:SCRATCH_EN: 0
; COMPUTE_PGM_RSRC2:USER_SGPR: 6
; COMPUTE_PGM_RSRC2:TRAP_HANDLER: 0
; COMPUTE_PGM_RSRC2:TGID_X_EN: 1
; COMPUTE_PGM_RSRC2:TGID_Y_EN: 1
; COMPUTE_PGM_RSRC2:TGID_Z_EN: 1
; COMPUTE_PGM_RSRC2:TIDIG_COMP_CNT: 1
	.section	.AMDGPU.gpr_maximums,"",@progbits
	.set amdgpu.max_num_vgpr, 0
	.set amdgpu.max_num_agpr, 0
	.set amdgpu.max_num_sgpr, 0
	.section	.AMDGPU.csdata,"",@progbits
	.protected	C_dirs                  ; @C_dirs
	.type	C_dirs,@object
	.section	.rodata,"a",@progbits
	.globl	C_dirs
	.p2align	4, 0x0
C_dirs:
	.zero	81
	.size	C_dirs, 81

	.type	_ZL3C_p,@object                 ; @_ZL3C_p
	.globl	_ZL3C_p
_ZL3C_p:
	.zero	12
	.size	_ZL3C_p, 12

	.type	__hip_cuid_dc7fd5d3bea22d0b,@object ; @__hip_cuid_dc7fd5d3bea22d0b
	.section	.bss,"aw",@nobits
	.globl	__hip_cuid_dc7fd5d3bea22d0b
__hip_cuid_dc7fd5d3bea22d0b:
	.byte	0                               ; 0x0
	.size	__hip_cuid_dc7fd5d3bea22d0b, 1

	.ident	"AMD clang version 22.0.0git (https://github.com/RadeonOpenCompute/llvm-project roc-7.2.4 26084 f58b06dce1f9c15707c5f808fd002e18c2accf7e)"
	.section	".note.GNU-stack","",@progbits
	.addrsig
	.addrsig_sym C_dirs
	.addrsig_sym _ZL3C_p
	.addrsig_sym __hip_cuid_dc7fd5d3bea22d0b
	.amdgpu_metadata
---
amdhsa.kernels:
  - .args:
      - .address_space:  global
        .offset:         0
        .size:           8
        .value_kind:     global_buffer
      - .actual_access:  write_only
        .address_space:  global
        .offset:         8
        .size:           8
        .value_kind:     global_buffer
      - .actual_access:  write_only
        .address_space:  global
        .offset:         16
        .size:           8
        .value_kind:     global_buffer
      - .offset:         24
        .size:           24
        .value_kind:     by_value
      - .offset:         48
        .size:           24
        .value_kind:     by_value
      - .offset:         72
        .size:           4
        .value_kind:     by_value
      - .offset:         76
        .size:           4
        .value_kind:     by_value
      - .offset:         80
        .size:           4
        .value_kind:     by_value
      - .offset:         84
        .size:           4
        .value_kind:     by_value
      - .offset:         88
        .size:           4
        .value_kind:     hidden_block_count_x
      - .offset:         92
        .size:           4
        .value_kind:     hidden_block_count_y
      - .offset:         96
        .size:           4
        .value_kind:     hidden_block_count_z
      - .offset:         100
        .size:           2
        .value_kind:     hidden_group_size_x
      - .offset:         102
        .size:           2
        .value_kind:     hidden_group_size_y
      - .offset:         104
        .size:           2
        .value_kind:     hidden_group_size_z
      - .offset:         106
        .size:           2
        .value_kind:     hidden_remainder_x
      - .offset:         108
        .size:           2
        .value_kind:     hidden_remainder_y
      - .offset:         110
        .size:           2
        .value_kind:     hidden_remainder_z
      - .offset:         128
        .size:           8
        .value_kind:     hidden_global_offset_x
      - .offset:         136
        .size:           8
        .value_kind:     hidden_global_offset_y
      - .offset:         144
        .size:           8
        .value_kind:     hidden_global_offset_z
      - .offset:         152
        .size:           2
        .value_kind:     hidden_grid_dims
    .group_segment_fixed_size: 0
    .kernarg_segment_align: 8
    .kernarg_segment_size: 344
    .language:       OpenCL C
    .language_version:
      - 2
      - 0
    .max_flat_workgroup_size: 1024
    .name:           _Z9make_flagPcPiS_5BoxCU10outer_walliiii
    .private_segment_fixed_size: 0
    .sgpr_count:     100
    .sgpr_spill_count: 32
    .symbol:         _Z9make_flagPcPiS_5BoxCU10outer_walliiii.kd
    .uniform_work_group_size: 1
    .uses_dynamic_stack: false
    .vgpr_count:     26
    .vgpr_spill_count: 0
    .wavefront_size: 64
  - .args:
      - .address_space:  global
        .offset:         0
        .size:           8
        .value_kind:     global_buffer
      - .address_space:  global
        .offset:         8
        .size:           8
        .value_kind:     global_buffer
      - .address_space:  global
        .offset:         16
        .size:           8
        .value_kind:     global_buffer
      - .offset:         24
        .size:           24
        .value_kind:     by_value
      - .offset:         48
        .size:           4
        .value_kind:     by_value
      - .offset:         56
        .size:           4
        .value_kind:     hidden_block_count_x
      - .offset:         60
        .size:           4
        .value_kind:     hidden_block_count_y
      - .offset:         64
        .size:           4
        .value_kind:     hidden_block_count_z
      - .offset:         68
        .size:           2
        .value_kind:     hidden_group_size_x
      - .offset:         70
        .size:           2
        .value_kind:     hidden_group_size_y
      - .offset:         72
        .size:           2
        .value_kind:     hidden_group_size_z
      - .offset:         74
        .size:           2
        .value_kind:     hidden_remainder_x
      - .offset:         76
        .size:           2
        .value_kind:     hidden_remainder_y
      - .offset:         78
        .size:           2
        .value_kind:     hidden_remainder_z
      - .offset:         96
        .size:           8
        .value_kind:     hidden_global_offset_x
      - .offset:         104
        .size:           8
        .value_kind:     hidden_global_offset_y
      - .offset:         112
        .size:           8
        .value_kind:     hidden_global_offset_z
      - .offset:         120
        .size:           2
        .value_kind:     hidden_grid_dims
    .group_segment_fixed_size: 0
    .kernarg_segment_align: 8
    .kernarg_segment_size: 312
    .language:       OpenCL C
    .language_version:
      - 2
      - 0
    .max_flat_workgroup_size: 1024
    .name:           _Z9find_wallILi19EEvPcS0_Pi5BoxCUi
    .private_segment_fixed_size: 0
    .sgpr_count:     100
    .sgpr_spill_count: 4
    .symbol:         _Z9find_wallILi19EEvPcS0_Pi5BoxCUi.kd
    .uniform_work_group_size: 1
    .uses_dynamic_stack: false
    .vgpr_count:     48
    .vgpr_spill_count: 0
    .wavefront_size: 64
  - .args:
      - .offset:         0
        .size:           120
        .value_kind:     by_value
      - .offset:         120
        .size:           24
        .value_kind:     by_value
      - .offset:         144
        .size:           24
        .value_kind:     by_value
      - .offset:         168
        .size:           8
        .value_kind:     by_value
      - .offset:         176
        .size:           4
        .value_kind:     by_value
      - .offset:         180
        .size:           4
        .value_kind:     by_value
      - .offset:         184
        .size:           4
        .value_kind:     by_value
      - .offset:         192
        .size:           8
        .value_kind:     by_value
      - .offset:         200
        .size:           4
        .value_kind:     hidden_block_count_x
      - .offset:         204
        .size:           4
        .value_kind:     hidden_block_count_y
      - .offset:         208
        .size:           4
        .value_kind:     hidden_block_count_z
      - .offset:         212
        .size:           2
        .value_kind:     hidden_group_size_x
      - .offset:         214
        .size:           2
        .value_kind:     hidden_group_size_y
      - .offset:         216
        .size:           2
        .value_kind:     hidden_group_size_z
      - .offset:         218
        .size:           2
        .value_kind:     hidden_remainder_x
      - .offset:         220
        .size:           2
        .value_kind:     hidden_remainder_y
      - .offset:         222
        .size:           2
        .value_kind:     hidden_remainder_z
      - .offset:         240
        .size:           8
        .value_kind:     hidden_global_offset_x
      - .offset:         248
        .size:           8
        .value_kind:     hidden_global_offset_y
      - .offset:         256
        .size:           8
        .value_kind:     hidden_global_offset_z
      - .offset:         264
        .size:           2
        .value_kind:     hidden_grid_dims
    .group_segment_fixed_size: 0
    .kernarg_segment_align: 8
    .kernarg_segment_size: 456
    .language:       OpenCL C
    .language_version:
      - 2
      - 0
    .max_flat_workgroup_size: 1024
    .name:           _Z15init_velocity_gIL12lattice_type19EEv8lbm_vars5BoxCUS2_dfffd
    .private_segment_fixed_size: 40
    .sgpr_count:     84
    .sgpr_spill_count: 0
    .symbol:         _Z15init_velocity_gIL12lattice_type19EEv8lbm_vars5BoxCUS2_dfffd.kd
    .uniform_work_group_size: 1
    .uses_dynamic_stack: false
    .vgpr_count:     64
    .vgpr_spill_count: 10
    .wavefront_size: 64
  - .args:
      - .offset:         0
        .size:           120
        .value_kind:     by_value
      - .offset:         120
        .size:           24
        .value_kind:     by_value
      - .offset:         144
        .size:           8
        .value_kind:     by_value
      - .offset:         152
        .size:           8
        .value_kind:     by_value
      - .offset:         160
        .size:           1
        .value_kind:     by_value
      - .offset:         164
        .size:           4
        .value_kind:     by_value
      - .offset:         168
        .size:           4
        .value_kind:     hidden_block_count_x
      - .offset:         172
        .size:           4
        .value_kind:     hidden_block_count_y
      - .offset:         176
        .size:           4
        .value_kind:     hidden_block_count_z
      - .offset:         180
        .size:           2
        .value_kind:     hidden_group_size_x
      - .offset:         182
        .size:           2
        .value_kind:     hidden_group_size_y
      - .offset:         184
        .size:           2
        .value_kind:     hidden_group_size_z
      - .offset:         186
        .size:           2
        .value_kind:     hidden_remainder_x
      - .offset:         188
        .size:           2
        .value_kind:     hidden_remainder_y
      - .offset:         190
        .size:           2
        .value_kind:     hidden_remainder_z
      - .offset:         208
        .size:           8
        .value_kind:     hidden_global_offset_x
      - .offset:         216
        .size:           8
        .value_kind:     hidden_global_offset_y
      - .offset:         224
        .size:           8
        .value_kind:     hidden_global_offset_z
      - .offset:         232
        .size:           2
        .value_kind:     hidden_grid_dims
    .group_segment_fixed_size: 0
    .kernarg_segment_align: 8
    .kernarg_segment_size: 424
    .language:       OpenCL C
    .language_version:
      - 2
      - 0
    .max_flat_workgroup_size: 64
    .name:           _Z20collide_and_stream_gIL12lattice_type19EEv8lbm_vars5BoxCUddbi
    .private_segment_fixed_size: 0
    .sgpr_count:     100
    .sgpr_spill_count: 33
    .symbol:         _Z20collide_and_stream_gIL12lattice_type19EEv8lbm_vars5BoxCUddbi.kd
    .uniform_work_group_size: 1
    .uses_dynamic_stack: false
    .vgpr_count:     140
    .vgpr_spill_count: 0
    .wavefront_size: 64
amdhsa.target:   amdgcn-amd-amdhsa--gfx906
amdhsa.version:
  - 1
  - 2
...

	.end_amdgpu_metadata
